;; amdgpu-corpus repo=ROCm/rocFFT kind=compiled arch=gfx1030 opt=O3
	.text
	.amdgcn_target "amdgcn-amd-amdhsa--gfx1030"
	.amdhsa_code_object_version 6
	.protected	fft_rtc_fwd_len3840_factors_10_6_2_2_2_2_2_2_wgs_128_tpt_128_halfLds_sp_ip_CI_unitstride_sbrr_dirReg ; -- Begin function fft_rtc_fwd_len3840_factors_10_6_2_2_2_2_2_2_wgs_128_tpt_128_halfLds_sp_ip_CI_unitstride_sbrr_dirReg
	.globl	fft_rtc_fwd_len3840_factors_10_6_2_2_2_2_2_2_wgs_128_tpt_128_halfLds_sp_ip_CI_unitstride_sbrr_dirReg
	.p2align	8
	.type	fft_rtc_fwd_len3840_factors_10_6_2_2_2_2_2_2_wgs_128_tpt_128_halfLds_sp_ip_CI_unitstride_sbrr_dirReg,@function
fft_rtc_fwd_len3840_factors_10_6_2_2_2_2_2_2_wgs_128_tpt_128_halfLds_sp_ip_CI_unitstride_sbrr_dirReg: ; @fft_rtc_fwd_len3840_factors_10_6_2_2_2_2_2_2_wgs_128_tpt_128_halfLds_sp_ip_CI_unitstride_sbrr_dirReg
; %bb.0:
	s_clause 0x2
	s_load_dwordx4 s[8:11], s[4:5], 0x0
	s_load_dwordx2 s[2:3], s[4:5], 0x50
	s_load_dwordx2 s[12:13], s[4:5], 0x18
	v_mov_b32_e32 v3, 0
	v_mov_b32_e32 v1, 0
	v_mov_b32_e32 v5, s6
	v_mov_b32_e32 v2, 0
	v_mov_b32_e32 v6, v3
	s_waitcnt lgkmcnt(0)
	v_cmp_lt_u64_e64 s0, s[10:11], 2
	s_and_b32 vcc_lo, exec_lo, s0
	s_cbranch_vccnz .LBB0_8
; %bb.1:
	s_load_dwordx2 s[0:1], s[4:5], 0x10
	v_mov_b32_e32 v1, 0
	s_add_u32 s6, s12, 8
	v_mov_b32_e32 v2, 0
	s_addc_u32 s7, s13, 0
	s_mov_b64 s[16:17], 1
	s_waitcnt lgkmcnt(0)
	s_add_u32 s14, s0, 8
	s_addc_u32 s15, s1, 0
.LBB0_2:                                ; =>This Inner Loop Header: Depth=1
	s_load_dwordx2 s[18:19], s[14:15], 0x0
                                        ; implicit-def: $vgpr7_vgpr8
	s_mov_b32 s0, exec_lo
	s_waitcnt lgkmcnt(0)
	v_or_b32_e32 v4, s19, v6
	v_cmpx_ne_u64_e32 0, v[3:4]
	s_xor_b32 s1, exec_lo, s0
	s_cbranch_execz .LBB0_4
; %bb.3:                                ;   in Loop: Header=BB0_2 Depth=1
	v_cvt_f32_u32_e32 v4, s18
	v_cvt_f32_u32_e32 v7, s19
	s_sub_u32 s0, 0, s18
	s_subb_u32 s20, 0, s19
	v_fmac_f32_e32 v4, 0x4f800000, v7
	v_rcp_f32_e32 v4, v4
	v_mul_f32_e32 v4, 0x5f7ffffc, v4
	v_mul_f32_e32 v7, 0x2f800000, v4
	v_trunc_f32_e32 v7, v7
	v_fmac_f32_e32 v4, 0xcf800000, v7
	v_cvt_u32_f32_e32 v7, v7
	v_cvt_u32_f32_e32 v4, v4
	v_mul_lo_u32 v8, s0, v7
	v_mul_hi_u32 v9, s0, v4
	v_mul_lo_u32 v10, s20, v4
	v_add_nc_u32_e32 v8, v9, v8
	v_mul_lo_u32 v9, s0, v4
	v_add_nc_u32_e32 v8, v8, v10
	v_mul_hi_u32 v10, v4, v9
	v_mul_lo_u32 v11, v4, v8
	v_mul_hi_u32 v12, v4, v8
	v_mul_hi_u32 v13, v7, v9
	v_mul_lo_u32 v9, v7, v9
	v_mul_hi_u32 v14, v7, v8
	v_mul_lo_u32 v8, v7, v8
	v_add_co_u32 v10, vcc_lo, v10, v11
	v_add_co_ci_u32_e32 v11, vcc_lo, 0, v12, vcc_lo
	v_add_co_u32 v9, vcc_lo, v10, v9
	v_add_co_ci_u32_e32 v9, vcc_lo, v11, v13, vcc_lo
	v_add_co_ci_u32_e32 v10, vcc_lo, 0, v14, vcc_lo
	v_add_co_u32 v8, vcc_lo, v9, v8
	v_add_co_ci_u32_e32 v9, vcc_lo, 0, v10, vcc_lo
	v_add_co_u32 v4, vcc_lo, v4, v8
	v_add_co_ci_u32_e32 v7, vcc_lo, v7, v9, vcc_lo
	v_mul_hi_u32 v8, s0, v4
	v_mul_lo_u32 v10, s20, v4
	v_mul_lo_u32 v9, s0, v7
	v_add_nc_u32_e32 v8, v8, v9
	v_mul_lo_u32 v9, s0, v4
	v_add_nc_u32_e32 v8, v8, v10
	v_mul_hi_u32 v10, v4, v9
	v_mul_lo_u32 v11, v4, v8
	v_mul_hi_u32 v12, v4, v8
	v_mul_hi_u32 v13, v7, v9
	v_mul_lo_u32 v9, v7, v9
	v_mul_hi_u32 v14, v7, v8
	v_mul_lo_u32 v8, v7, v8
	v_add_co_u32 v10, vcc_lo, v10, v11
	v_add_co_ci_u32_e32 v11, vcc_lo, 0, v12, vcc_lo
	v_add_co_u32 v9, vcc_lo, v10, v9
	v_add_co_ci_u32_e32 v9, vcc_lo, v11, v13, vcc_lo
	v_add_co_ci_u32_e32 v10, vcc_lo, 0, v14, vcc_lo
	v_add_co_u32 v8, vcc_lo, v9, v8
	v_add_co_ci_u32_e32 v9, vcc_lo, 0, v10, vcc_lo
	v_add_co_u32 v4, vcc_lo, v4, v8
	v_add_co_ci_u32_e32 v11, vcc_lo, v7, v9, vcc_lo
	v_mul_hi_u32 v13, v5, v4
	v_mad_u64_u32 v[9:10], null, v6, v4, 0
	v_mad_u64_u32 v[7:8], null, v5, v11, 0
	;; [unrolled: 1-line block ×3, first 2 shown]
	v_add_co_u32 v4, vcc_lo, v13, v7
	v_add_co_ci_u32_e32 v7, vcc_lo, 0, v8, vcc_lo
	v_add_co_u32 v4, vcc_lo, v4, v9
	v_add_co_ci_u32_e32 v4, vcc_lo, v7, v10, vcc_lo
	v_add_co_ci_u32_e32 v7, vcc_lo, 0, v12, vcc_lo
	v_add_co_u32 v4, vcc_lo, v4, v11
	v_add_co_ci_u32_e32 v9, vcc_lo, 0, v7, vcc_lo
	v_mul_lo_u32 v10, s19, v4
	v_mad_u64_u32 v[7:8], null, s18, v4, 0
	v_mul_lo_u32 v11, s18, v9
	v_sub_co_u32 v7, vcc_lo, v5, v7
	v_add3_u32 v8, v8, v11, v10
	v_sub_nc_u32_e32 v10, v6, v8
	v_subrev_co_ci_u32_e64 v10, s0, s19, v10, vcc_lo
	v_add_co_u32 v11, s0, v4, 2
	v_add_co_ci_u32_e64 v12, s0, 0, v9, s0
	v_sub_co_u32 v13, s0, v7, s18
	v_sub_co_ci_u32_e32 v8, vcc_lo, v6, v8, vcc_lo
	v_subrev_co_ci_u32_e64 v10, s0, 0, v10, s0
	v_cmp_le_u32_e32 vcc_lo, s18, v13
	v_cmp_eq_u32_e64 s0, s19, v8
	v_cndmask_b32_e64 v13, 0, -1, vcc_lo
	v_cmp_le_u32_e32 vcc_lo, s19, v10
	v_cndmask_b32_e64 v14, 0, -1, vcc_lo
	v_cmp_le_u32_e32 vcc_lo, s18, v7
	;; [unrolled: 2-line block ×3, first 2 shown]
	v_cndmask_b32_e64 v15, 0, -1, vcc_lo
	v_cmp_eq_u32_e32 vcc_lo, s19, v10
	v_cndmask_b32_e64 v7, v15, v7, s0
	v_cndmask_b32_e32 v10, v14, v13, vcc_lo
	v_add_co_u32 v13, vcc_lo, v4, 1
	v_add_co_ci_u32_e32 v14, vcc_lo, 0, v9, vcc_lo
	v_cmp_ne_u32_e32 vcc_lo, 0, v10
	v_cndmask_b32_e32 v8, v14, v12, vcc_lo
	v_cndmask_b32_e32 v10, v13, v11, vcc_lo
	v_cmp_ne_u32_e32 vcc_lo, 0, v7
	v_cndmask_b32_e32 v8, v9, v8, vcc_lo
	v_cndmask_b32_e32 v7, v4, v10, vcc_lo
.LBB0_4:                                ;   in Loop: Header=BB0_2 Depth=1
	s_andn2_saveexec_b32 s0, s1
	s_cbranch_execz .LBB0_6
; %bb.5:                                ;   in Loop: Header=BB0_2 Depth=1
	v_cvt_f32_u32_e32 v4, s18
	s_sub_i32 s1, 0, s18
	v_rcp_iflag_f32_e32 v4, v4
	v_mul_f32_e32 v4, 0x4f7ffffe, v4
	v_cvt_u32_f32_e32 v4, v4
	v_mul_lo_u32 v7, s1, v4
	v_mul_hi_u32 v7, v4, v7
	v_add_nc_u32_e32 v4, v4, v7
	v_mul_hi_u32 v4, v5, v4
	v_mul_lo_u32 v7, v4, s18
	v_add_nc_u32_e32 v8, 1, v4
	v_sub_nc_u32_e32 v7, v5, v7
	v_subrev_nc_u32_e32 v9, s18, v7
	v_cmp_le_u32_e32 vcc_lo, s18, v7
	v_cndmask_b32_e32 v7, v7, v9, vcc_lo
	v_cndmask_b32_e32 v4, v4, v8, vcc_lo
	v_cmp_le_u32_e32 vcc_lo, s18, v7
	v_add_nc_u32_e32 v8, 1, v4
	v_cndmask_b32_e32 v7, v4, v8, vcc_lo
	v_mov_b32_e32 v8, v3
.LBB0_6:                                ;   in Loop: Header=BB0_2 Depth=1
	s_or_b32 exec_lo, exec_lo, s0
	s_load_dwordx2 s[0:1], s[6:7], 0x0
	v_mul_lo_u32 v4, v8, s18
	v_mul_lo_u32 v11, v7, s19
	v_mad_u64_u32 v[9:10], null, v7, s18, 0
	s_add_u32 s16, s16, 1
	s_addc_u32 s17, s17, 0
	s_add_u32 s6, s6, 8
	s_addc_u32 s7, s7, 0
	;; [unrolled: 2-line block ×3, first 2 shown]
	v_add3_u32 v4, v10, v11, v4
	v_sub_co_u32 v5, vcc_lo, v5, v9
	v_sub_co_ci_u32_e32 v4, vcc_lo, v6, v4, vcc_lo
	s_waitcnt lgkmcnt(0)
	v_mul_lo_u32 v6, s1, v5
	v_mul_lo_u32 v4, s0, v4
	v_mad_u64_u32 v[1:2], null, s0, v5, v[1:2]
	v_cmp_ge_u64_e64 s0, s[16:17], s[10:11]
	s_and_b32 vcc_lo, exec_lo, s0
	v_add3_u32 v2, v6, v2, v4
	s_cbranch_vccnz .LBB0_9
; %bb.7:                                ;   in Loop: Header=BB0_2 Depth=1
	v_mov_b32_e32 v5, v7
	v_mov_b32_e32 v6, v8
	s_branch .LBB0_2
.LBB0_8:
	v_mov_b32_e32 v8, v6
	v_mov_b32_e32 v7, v5
.LBB0_9:
	s_lshl_b64 s[0:1], s[10:11], 3
	v_or_b32_e32 v38, 0x80, v0
	s_add_u32 s0, s12, s0
	s_addc_u32 s1, s13, s1
	v_or_b32_e32 v40, 0x100, v0
	s_load_dwordx2 s[0:1], s[0:1], 0x0
	s_load_dwordx2 s[4:5], s[4:5], 0x20
	v_or_b32_e32 v56, 0x280, v0
	v_or_b32_e32 v44, 0x500, v0
	;; [unrolled: 1-line block ×12, first 2 shown]
	s_waitcnt lgkmcnt(0)
	v_mul_lo_u32 v4, s0, v8
	v_mul_lo_u32 v5, s1, v7
	v_mad_u64_u32 v[2:3], null, s0, v7, v[1:2]
	v_cmp_gt_u64_e32 vcc_lo, s[4:5], v[7:8]
	v_cmp_le_u64_e64 s0, s[4:5], v[7:8]
	v_add3_u32 v3, v5, v3, v4
	s_and_saveexec_b32 s1, s0
	s_xor_b32 s0, exec_lo, s1
	s_cbranch_execz .LBB0_11
; %bb.10:
	v_mov_b32_e32 v1, 0
	v_or_b32_e32 v38, 0x80, v0
	v_or_b32_e32 v40, 0x100, v0
	;; [unrolled: 1-line block ×14, first 2 shown]
	v_mov_b32_e32 v39, v1
	v_mov_b32_e32 v41, v1
	;; [unrolled: 1-line block ×6, first 2 shown]
.LBB0_11:
	s_or_saveexec_b32 s1, s0
	v_lshlrev_b64 v[49:50], 3, v[2:3]
	v_lshlrev_b32_e32 v100, 3, v0
                                        ; implicit-def: $vgpr23
                                        ; implicit-def: $vgpr69
                                        ; implicit-def: $vgpr71
                                        ; implicit-def: $vgpr67
                                        ; implicit-def: $vgpr73
                                        ; implicit-def: $vgpr9
                                        ; implicit-def: $vgpr25
                                        ; implicit-def: $vgpr33
                                        ; implicit-def: $vgpr29
                                        ; implicit-def: $vgpr27
                                        ; implicit-def: $vgpr3
                                        ; implicit-def: $vgpr15
                                        ; implicit-def: $vgpr17
                                        ; implicit-def: $vgpr11
                                        ; implicit-def: $vgpr13
                                        ; implicit-def: $vgpr7
                                        ; implicit-def: $vgpr19
                                        ; implicit-def: $vgpr21
                                        ; implicit-def: $vgpr83
                                        ; implicit-def: $vgpr5
                                        ; implicit-def: $vgpr35
                                        ; implicit-def: $vgpr37
                                        ; implicit-def: $vgpr65
                                        ; implicit-def: $vgpr85
                                        ; implicit-def: $vgpr31
                                        ; implicit-def: $vgpr77
                                        ; implicit-def: $vgpr81
                                        ; implicit-def: $vgpr79
                                        ; implicit-def: $vgpr87
                                        ; implicit-def: $vgpr75
	s_xor_b32 exec_lo, exec_lo, s1
	s_cbranch_execz .LBB0_13
; %bb.12:
	v_add_co_u32 v21, s0, s2, v49
	v_add_co_ci_u32_e64 v22, s0, s3, v50, s0
	v_lshlrev_b32_e32 v3, 3, v62
	v_add_co_u32 v1, s0, v21, v100
	v_lshlrev_b32_e32 v5, 3, v58
	v_add_co_ci_u32_e64 v2, s0, 0, v22, s0
	v_add_co_u32 v3, s0, v21, v3
	v_lshlrev_b32_e32 v7, 3, v46
	v_add_co_ci_u32_e64 v4, s0, 0, v22, s0
	;; [unrolled: 3-line block ×3, first 2 shown]
	v_add_co_u32 v7, s0, v21, v7
	v_or_b32_e32 v11, 0x3c00, v100
	v_add_co_ci_u32_e64 v8, s0, 0, v22, s0
	v_add_co_u32 v9, s0, v21, v9
	v_or_b32_e32 v13, 0x4800, v100
	v_add_co_ci_u32_e64 v10, s0, 0, v22, s0
	;; [unrolled: 3-line block ×5, first 2 shown]
	v_add_co_u32 v17, s0, v21, v17
	v_lshlrev_b32_e32 v23, 3, v60
	v_add_co_ci_u32_e64 v18, s0, 0, v22, s0
	v_add_co_u32 v19, s0, v21, v19
	v_lshlrev_b32_e32 v26, 3, v42
	v_add_co_ci_u32_e64 v20, s0, 0, v22, s0
	;; [unrolled: 3-line block ×4, first 2 shown]
	v_add_co_u32 v28, s0, v21, v23
	v_or_b32_e32 v23, 0x4000, v100
	v_add_co_ci_u32_e64 v29, s0, 0, v22, s0
	v_add_co_u32 v32, s0, v21, v30
	v_or_b32_e32 v30, 0x4c00, v100
	v_add_co_ci_u32_e64 v33, s0, 0, v22, s0
	;; [unrolled: 3-line block ×5, first 2 shown]
	v_add_co_u32 v88, s0, v21, v30
	v_lshlrev_b32_e32 v30, 3, v40
	v_add_co_ci_u32_e64 v89, s0, 0, v22, s0
	v_add_co_u32 v90, s0, v21, v23
	v_lshlrev_b32_e32 v23, 3, v56
	v_add_co_ci_u32_e64 v91, s0, 0, v22, s0
	;; [unrolled: 3-line block ×5, first 2 shown]
	v_add_co_u32 v98, s0, v21, v23
	v_or_b32_e32 v23, 0x4400, v100
	v_add_co_ci_u32_e64 v99, s0, 0, v22, s0
	v_add_co_u32 v101, s0, v21, v30
	v_or_b32_e32 v30, 0x5000, v100
	v_add_co_ci_u32_e64 v102, s0, 0, v22, s0
	;; [unrolled: 3-line block ×5, first 2 shown]
	v_add_co_u32 v109, s0, v21, v30
	v_add_co_ci_u32_e64 v110, s0, 0, v22, s0
	v_add_co_u32 v111, s0, v21, v23
	v_add_co_ci_u32_e64 v112, s0, 0, v22, s0
	s_clause 0x1d
	global_load_dwordx2 v[86:87], v[7:8], off
	global_load_dwordx2 v[70:71], v[9:10], off
	;; [unrolled: 1-line block ×7, first 2 shown]
	global_load_dwordx2 v[8:9], v[1:2], off offset:1024
	global_load_dwordx2 v[80:81], v[15:16], off
	global_load_dwordx2 v[72:73], v[17:18], off
	;; [unrolled: 1-line block ×22, first 2 shown]
	v_mov_b32_e32 v1, 0
	v_mov_b32_e32 v63, v1
	;; [unrolled: 1-line block ×7, first 2 shown]
.LBB0_13:
	s_or_b32 exec_lo, exec_lo, s1
	s_waitcnt vmcnt(26)
	v_add_f32_e32 v45, v70, v66
	s_waitcnt vmcnt(20)
	v_add_f32_e32 v48, v68, v72
	v_add_f32_e32 v54, v22, v68
	v_sub_f32_e32 v93, v71, v67
	v_sub_f32_e32 v52, v66, v72
	v_fma_f32 v89, -0.5, v45, v22
	v_fmac_f32_e32 v22, -0.5, v48
	v_sub_f32_e32 v48, v70, v68
	v_sub_f32_e32 v94, v69, v73
	;; [unrolled: 1-line block ×4, first 2 shown]
	v_fmamk_f32 v92, v93, 0xbf737871, v22
	v_fmac_f32_e32 v22, 0x3f737871, v93
	v_add_f32_e32 v48, v48, v52
	v_add_f32_e32 v52, v80, v78
	s_waitcnt vmcnt(19)
	v_add_f32_e32 v96, v76, v86
	v_fmac_f32_e32 v92, 0x3f167918, v94
	v_fmac_f32_e32 v22, 0xbf167918, v94
	v_sub_f32_e32 v91, v86, v78
	v_fma_f32 v90, -0.5, v52, v74
	v_sub_f32_e32 v52, v80, v76
	v_fmac_f32_e32 v92, 0x3e9e377a, v48
	v_fmac_f32_e32 v22, 0x3e9e377a, v48
	v_sub_f32_e32 v48, v78, v86
	v_add_f32_e32 v95, v45, v88
	v_sub_f32_e32 v45, v76, v80
	v_add_f32_e32 v99, v86, v74
	v_fmac_f32_e32 v74, -0.5, v96
	v_sub_f32_e32 v97, v79, v81
	v_add_f32_e32 v88, v81, v79
	v_add_f32_e32 v52, v52, v48
	;; [unrolled: 1-line block ×4, first 2 shown]
	v_fmamk_f32 v45, v97, 0xbf737871, v74
	v_sub_f32_e32 v98, v87, v77
	v_fmac_f32_e32 v74, 0x3f737871, v97
	v_fma_f32 v91, -0.5, v88, v75
	v_add_f32_e32 v88, v87, v75
	v_fmac_f32_e32 v75, -0.5, v48
	v_sub_f32_e32 v101, v78, v80
	v_fmac_f32_e32 v45, 0x3f167918, v98
	v_fmac_f32_e32 v74, 0xbf167918, v98
	v_sub_f32_e32 v102, v86, v76
	v_sub_f32_e32 v86, v79, v87
	;; [unrolled: 1-line block ×3, first 2 shown]
	v_fmamk_f32 v48, v101, 0x3f737871, v75
	v_fmac_f32_e32 v75, 0xbf737871, v101
	v_fmac_f32_e32 v45, 0x3e9e377a, v52
	;; [unrolled: 1-line block ×3, first 2 shown]
	v_add_f32_e32 v86, v103, v86
	v_fmac_f32_e32 v48, 0xbf167918, v102
	v_fmac_f32_e32 v75, 0x3f167918, v102
	v_fmamk_f32 v52, v98, 0x3f737871, v90
	v_sub_f32_e32 v87, v87, v79
	v_sub_f32_e32 v104, v77, v81
	v_fmac_f32_e32 v48, 0x3e9e377a, v86
	v_fmac_f32_e32 v75, 0x3e9e377a, v86
	v_add_f32_e32 v86, v54, v70
	v_fmamk_f32 v54, v102, 0xbf737871, v91
	v_fmac_f32_e32 v52, 0x3f167918, v97
	v_add_f32_e32 v103, v104, v87
	v_fmamk_f32 v104, v94, 0x3f737871, v89
	v_add_f32_e32 v78, v78, v99
	v_add_f32_e32 v86, v86, v66
	v_fmac_f32_e32 v54, 0xbf167918, v101
	v_fmac_f32_e32 v52, 0x3e9e377a, v96
	;; [unrolled: 1-line block ×4, first 2 shown]
	v_add_f32_e32 v78, v80, v78
	v_add_f32_e32 v80, v86, v72
	v_fmac_f32_e32 v54, 0x3e9e377a, v103
	v_mul_f32_e32 v99, 0x3f4f1bbd, v52
	v_mul_f32_e32 v105, 0x3e9e377a, v45
	;; [unrolled: 1-line block ×3, first 2 shown]
	v_fmac_f32_e32 v91, 0x3f737871, v102
	v_fmac_f32_e32 v90, 0xbf167918, v97
	v_fmac_f32_e32 v104, 0x3e9e377a, v95
	v_add_f32_e32 v76, v76, v78
	v_fmac_f32_e32 v99, 0x3f167918, v54
	v_fmac_f32_e32 v105, 0x3f737871, v48
	v_fma_f32 v78, 0x3f737871, v75, -v86
	v_mul_u32_u24_e32 v102, 10, v0
	v_fmac_f32_e32 v89, 0xbf737871, v94
	v_fmac_f32_e32 v91, 0x3f167918, v101
	;; [unrolled: 1-line block ×3, first 2 shown]
	v_add_f32_e32 v86, v80, v76
	v_add_f32_e32 v87, v104, v99
	;; [unrolled: 1-line block ×4, first 2 shown]
	v_lshl_add_u32 v94, v102, 2, 0
	v_fmac_f32_e32 v89, 0xbf167918, v93
	v_fmac_f32_e32 v91, 0x3e9e377a, v103
	v_mul_f32_e32 v93, 0x3f4f1bbd, v90
	s_waitcnt vmcnt(13)
	v_add_f32_e32 v96, v32, v28
	ds_write2_b64 v94, v[86:87], v[97:98] offset1:1
	v_fmac_f32_e32 v89, 0x3e9e377a, v95
	s_waitcnt vmcnt(11)
	v_add_f32_e32 v97, v24, v26
	v_fma_f32 v95, 0x3f167918, v91, -v93
	v_sub_f32_e32 v86, v104, v99
	v_sub_f32_e32 v87, v92, v105
	v_sub_f32_e32 v93, v80, v76
	v_fma_f32 v76, -0.5, v96, v8
	v_add_f32_e32 v92, v89, v95
	v_add_f32_e32 v80, v8, v24
	v_fmac_f32_e32 v8, -0.5, v97
	v_sub_f32_e32 v96, v33, v29
	v_sub_f32_e32 v97, v26, v28
	ds_write2_b64 v94, v[92:93], v[86:87] offset0:2 offset1:3
	v_sub_f32_e32 v87, v89, v95
	v_sub_f32_e32 v86, v32, v24
	;; [unrolled: 1-line block ×3, first 2 shown]
	v_fmamk_f32 v95, v96, 0xbf737871, v8
	v_sub_f32_e32 v93, v25, v27
	v_sub_f32_e32 v92, v24, v32
	v_fmac_f32_e32 v8, 0x3f737871, v96
	v_add_f32_e32 v89, v86, v89
	v_sub_f32_e32 v86, v22, v78
	v_fmac_f32_e32 v95, 0x3f167918, v93
	v_add_f32_e32 v78, v92, v97
	v_fmac_f32_e32 v8, 0xbf167918, v93
	v_sub_f32_e32 v97, v84, v64
	s_waitcnt vmcnt(10)
	v_sub_f32_e32 v98, v34, v36
	v_add_f32_e32 v22, v36, v64
	v_fmac_f32_e32 v95, 0x3e9e377a, v89
	v_add_f32_e32 v92, v34, v84
	v_fmac_f32_e32 v8, 0x3e9e377a, v89
	v_add_f32_e32 v89, v98, v97
	v_sub_f32_e32 v97, v64, v84
	v_sub_f32_e32 v98, v36, v34
	v_fma_f32 v22, -0.5, v22, v30
	v_add_f32_e32 v99, v84, v30
	v_fmac_f32_e32 v30, -0.5, v92
	v_sub_f32_e32 v92, v65, v37
	v_sub_f32_e32 v101, v85, v35
	v_add_f32_e32 v102, v37, v65
	v_add_f32_e32 v97, v98, v97
	v_add_f32_e32 v98, v35, v85
	v_fmamk_f32 v110, v92, 0xbf737871, v30
	v_fmac_f32_e32 v30, 0x3f737871, v92
	v_fma_f32 v113, -0.5, v102, v31
	v_add_f32_e32 v114, v85, v31
	v_fmac_f32_e32 v31, -0.5, v98
	v_sub_f32_e32 v98, v64, v36
	v_sub_f32_e32 v102, v84, v34
	v_fmamk_f32 v116, v101, 0x3f737871, v22
	v_fmac_f32_e32 v110, 0x3f167918, v101
	v_fmac_f32_e32 v30, 0xbf167918, v101
	v_sub_f32_e32 v84, v65, v85
	v_sub_f32_e32 v103, v37, v35
	v_fmamk_f32 v115, v98, 0x3f737871, v31
	v_fmac_f32_e32 v31, 0xbf737871, v98
	v_sub_f32_e32 v85, v85, v65
	v_sub_f32_e32 v104, v35, v37
	v_add_f32_e32 v80, v80, v32
	v_fmamk_f32 v117, v102, 0xbf737871, v113
	v_fmac_f32_e32 v116, 0x3f167918, v92
	v_fmac_f32_e32 v22, 0xbf737871, v101
	;; [unrolled: 1-line block ×3, first 2 shown]
	v_add_f32_e32 v84, v103, v84
	v_fmac_f32_e32 v115, 0xbf167918, v102
	v_fmac_f32_e32 v31, 0x3f167918, v102
	;; [unrolled: 1-line block ×3, first 2 shown]
	v_add_f32_e32 v97, v104, v85
	v_fmamk_f32 v103, v93, 0x3f737871, v76
	v_add_f32_e32 v64, v64, v99
	v_add_f32_e32 v80, v80, v28
	v_fmac_f32_e32 v117, 0xbf167918, v98
	v_fmac_f32_e32 v116, 0x3e9e377a, v89
	v_fmac_f32_e32 v113, 0x3f737871, v102
	v_fmac_f32_e32 v22, 0xbf167918, v92
	v_fmac_f32_e32 v115, 0x3e9e377a, v84
	v_fmac_f32_e32 v31, 0x3e9e377a, v84
	v_fmac_f32_e32 v103, 0x3f167918, v96
	v_add_f32_e32 v36, v36, v64
	v_add_f32_e32 v64, v80, v26
	v_fmac_f32_e32 v117, 0x3e9e377a, v97
	v_mul_f32_e32 v80, 0x3f4f1bbd, v116
	v_mul_f32_e32 v99, 0x3e9e377a, v110
	;; [unrolled: 1-line block ×3, first 2 shown]
	v_fmac_f32_e32 v76, 0xbf737871, v93
	v_fmac_f32_e32 v113, 0x3f167918, v98
	;; [unrolled: 1-line block ×4, first 2 shown]
	v_add_f32_e32 v34, v34, v36
	v_fmac_f32_e32 v80, 0x3f167918, v117
	v_fmac_f32_e32 v99, 0x3f737871, v115
	v_fma_f32 v36, 0x3f737871, v31, -v84
	v_mul_i32_i24_e32 v101, 10, v38
	v_fmac_f32_e32 v76, 0xbf167918, v96
	v_fmac_f32_e32 v113, 0x3e9e377a, v97
	v_mul_f32_e32 v89, 0x3f4f1bbd, v22
	v_add_f32_e32 v84, v64, v34
	v_add_f32_e32 v85, v103, v80
	v_add_f32_e32 v92, v95, v99
	v_add_f32_e32 v93, v8, v36
	v_lshl_add_u32 v101, v101, 2, 0
	ds_write_b64 v94, v[86:87] offset:32
	ds_write2_b64 v101, v[84:85], v[92:93] offset1:1
	v_sub_f32_e32 v84, v103, v80
	v_fmac_f32_e32 v76, 0x3e9e377a, v78
	v_fma_f32 v78, 0x3f167918, v113, -v89
	s_waitcnt vmcnt(3)
	v_add_f32_e32 v80, v16, v10
	s_waitcnt vmcnt(1)
	v_add_f32_e32 v89, v14, v12
	v_sub_f32_e32 v85, v95, v99
	v_sub_f32_e32 v87, v64, v34
	v_add_f32_e32 v86, v76, v78
	v_fma_f32 v34, -0.5, v80, v2
	v_add_f32_e32 v64, v2, v14
	v_fmac_f32_e32 v2, -0.5, v89
	v_sub_f32_e32 v80, v17, v11
	ds_write2_b64 v101, v[86:87], v[84:85] offset0:2 offset1:3
	v_sub_f32_e32 v85, v76, v78
	v_sub_f32_e32 v76, v16, v14
	;; [unrolled: 1-line block ×3, first 2 shown]
	v_fmamk_f32 v89, v80, 0xbf737871, v2
	v_sub_f32_e32 v86, v15, v13
	v_fmac_f32_e32 v2, 0x3f737871, v80
	v_sub_f32_e32 v87, v14, v16
	v_add_f32_e32 v76, v76, v78
	v_sub_f32_e32 v92, v12, v10
	v_fmac_f32_e32 v89, 0x3f167918, v86
	v_fmac_f32_e32 v2, 0xbf167918, v86
	v_sub_f32_e32 v84, v8, v36
	v_add_f32_e32 v8, v18, v20
	s_waitcnt vmcnt(0)
	v_add_f32_e32 v78, v6, v82
	v_fmac_f32_e32 v89, 0x3e9e377a, v76
	v_fmac_f32_e32 v2, 0x3e9e377a, v76
	v_sub_f32_e32 v76, v20, v82
	v_sub_f32_e32 v95, v18, v6
	v_add_f32_e32 v36, v87, v92
	v_sub_f32_e32 v87, v82, v20
	v_sub_f32_e32 v92, v6, v18
	v_fma_f32 v8, -0.5, v8, v4
	v_add_f32_e32 v93, v82, v4
	v_fmac_f32_e32 v4, -0.5, v78
	v_sub_f32_e32 v78, v21, v19
	v_add_f32_e32 v96, v19, v21
	v_add_f32_e32 v76, v95, v76
	;; [unrolled: 1-line block ×4, first 2 shown]
	v_fmamk_f32 v97, v78, 0xbf737871, v4
	v_sub_f32_e32 v92, v83, v7
	v_fma_f32 v98, -0.5, v96, v5
	v_add_f32_e32 v99, v83, v5
	v_fmac_f32_e32 v5, -0.5, v95
	v_sub_f32_e32 v95, v20, v18
	v_fmac_f32_e32 v4, 0x3f737871, v78
	v_fmac_f32_e32 v97, 0x3f167918, v92
	v_sub_f32_e32 v82, v82, v6
	v_sub_f32_e32 v96, v21, v83
	;; [unrolled: 1-line block ×3, first 2 shown]
	v_fmamk_f32 v118, v95, 0x3f737871, v5
	v_fmac_f32_e32 v5, 0xbf737871, v95
	v_fmamk_f32 v119, v92, 0x3f737871, v8
	v_add_f32_e32 v20, v20, v93
	v_fmac_f32_e32 v4, 0xbf167918, v92
	v_sub_f32_e32 v83, v83, v21
	v_sub_f32_e32 v103, v7, v19
	v_add_f32_e32 v96, v102, v96
	v_fmac_f32_e32 v118, 0xbf167918, v82
	v_fmac_f32_e32 v97, 0x3e9e377a, v76
	;; [unrolled: 1-line block ×3, first 2 shown]
	v_add_f32_e32 v64, v64, v16
	v_fmamk_f32 v120, v82, 0xbf737871, v98
	v_fmac_f32_e32 v119, 0x3f167918, v78
	v_add_f32_e32 v18, v18, v20
	v_fmac_f32_e32 v4, 0x3e9e377a, v76
	v_add_f32_e32 v76, v103, v83
	v_fmac_f32_e32 v118, 0x3e9e377a, v96
	v_fmac_f32_e32 v5, 0x3e9e377a, v96
	v_fmamk_f32 v96, v86, 0x3f737871, v34
	v_add_f32_e32 v64, v64, v10
	v_fmac_f32_e32 v120, 0xbf167918, v95
	v_fmac_f32_e32 v119, 0x3e9e377a, v87
	v_add_f32_e32 v6, v6, v18
	v_fmac_f32_e32 v8, 0xbf737871, v92
	v_mul_f32_e32 v18, 0x3e9e377a, v97
	v_fmac_f32_e32 v96, 0x3f167918, v80
	v_add_f32_e32 v20, v64, v12
	v_fmac_f32_e32 v120, 0x3e9e377a, v76
	v_mul_f32_e32 v64, 0x3f4f1bbd, v119
	v_fmac_f32_e32 v98, 0x3f737871, v82
	v_fmac_f32_e32 v8, 0xbf167918, v78
	;; [unrolled: 1-line block ×4, first 2 shown]
	v_mul_f32_e32 v83, 0x3e9e377a, v4
	v_fmac_f32_e32 v64, 0x3f167918, v120
	v_fmac_f32_e32 v34, 0xbf737871, v86
	;; [unrolled: 1-line block ×4, first 2 shown]
	v_add_f32_e32 v86, v89, v18
	v_sub_f32_e32 v93, v89, v18
	v_add_f32_e32 v18, v23, v69
	v_fma_f32 v78, 0x3f737871, v5, -v83
	v_add_f32_e32 v82, v20, v6
	v_add_f32_e32 v83, v96, v64
	v_fmac_f32_e32 v34, 0xbf167918, v80
	v_fmac_f32_e32 v98, 0x3e9e377a, v76
	v_mul_f32_e32 v76, 0x3f4f1bbd, v8
	v_sub_f32_e32 v92, v96, v64
	v_sub_f32_e32 v96, v20, v6
	v_add_f32_e32 v18, v18, v71
	v_add_f32_e32 v20, v71, v67
	v_sub_f32_e32 v64, v70, v66
	v_add_f32_e32 v66, v69, v73
	v_fmac_f32_e32 v34, 0x3e9e377a, v36
	v_fma_f32 v36, 0x3f167918, v98, -v76
	v_sub_f32_e32 v70, v69, v71
	v_sub_f32_e32 v71, v71, v69
	;; [unrolled: 1-line block ×3, first 2 shown]
	v_add_f32_e32 v18, v18, v67
	v_sub_f32_e32 v69, v73, v67
	v_sub_f32_e32 v72, v67, v73
	v_mul_f32_e32 v67, 0x3e9e377a, v75
	v_fma_f32 v20, -0.5, v20, v23
	v_fmac_f32_e32 v23, -0.5, v66
	v_add_f32_e32 v87, v2, v78
	v_add_f32_e32 v95, v34, v36
	v_add_f32_e32 v6, v79, v88
	v_fma_f32 v121, 0xbf737871, v74, -v67
	v_sub_f32_e32 v67, v34, v36
	v_sub_f32_e32 v66, v2, v78
	v_fmamk_f32 v2, v64, 0x3f737871, v23
	v_fmamk_f32 v36, v68, 0xbf737871, v20
	v_fmac_f32_e32 v23, 0xbf737871, v64
	v_add_f32_e32 v6, v81, v6
	v_add_f32_e32 v34, v70, v69
	;; [unrolled: 1-line block ×3, first 2 shown]
	v_fmac_f32_e32 v2, 0xbf167918, v68
	v_mul_f32_e32 v122, 0xbf167918, v52
	v_fmac_f32_e32 v36, 0xbf167918, v64
	v_mul_f32_e32 v123, 0xbf737871, v45
	v_fmac_f32_e32 v23, 0x3f167918, v68
	v_mul_i32_i24_e32 v80, 10, v40
	v_add_f32_e32 v18, v18, v73
	v_add_f32_e32 v6, v77, v6
	v_fmac_f32_e32 v2, 0x3e9e377a, v69
	v_fmac_f32_e32 v122, 0x3f4f1bbd, v54
	;; [unrolled: 1-line block ×5, first 2 shown]
	v_lshl_add_u32 v102, v80, 2, 0
	ds_write_b64 v101, v[84:85] offset:32
	ds_write2_b64 v102, v[82:83], v[86:87] offset1:1
	ds_write2_b64 v102, v[95:96], v[92:93] offset0:2 offset1:3
	v_add_f32_e32 v92, v18, v6
	v_add_f32_e32 v93, v36, v122
	;; [unrolled: 1-line block ×4, first 2 shown]
	v_mad_i32_i24 v103, 0xffffffdc, v0, v94
	v_lshl_add_u32 v104, v56, 2, 0
	v_fmac_f32_e32 v20, 0x3f737871, v68
	v_lshl_add_u32 v105, v44, 2, 0
	v_lshl_add_u32 v106, v62, 2, 0
	v_mad_i32_i24 v45, 0xffffffdc, v40, v102
	v_mad_i32_i24 v48, 0xffffffdc, v38, v101
	ds_write_b64 v102, v[66:67] offset:32
	s_waitcnt lgkmcnt(0)
	s_barrier
	buffer_gl0_inv
	v_lshl_add_u32 v107, v60, 2, 0
	ds_read_b32 v112, v104
	ds_read_b32 v111, v105
	;; [unrolled: 1-line block ×6, first 2 shown]
	ds_read2st64_b32 v[66:67], v103 offset1:12
	ds_read2st64_b32 v[74:75], v103 offset0:28 offset1:30
	ds_read2st64_b32 v[82:83], v103 offset0:40 offset1:42
	;; [unrolled: 1-line block ×11, first 2 shown]
	s_waitcnt lgkmcnt(0)
	v_fmac_f32_e32 v20, 0x3f167918, v64
	s_barrier
	v_mul_f32_e32 v64, 0x3f4f1bbd, v91
	buffer_gl0_inv
	ds_write2_b64 v94, v[92:93], v[95:96] offset1:1
	v_sub_f32_e32 v96, v18, v6
	v_add_f32_e32 v6, v9, v25
	v_fmac_f32_e32 v20, 0x3e9e377a, v34
	v_fma_f32 v34, 0xbf167918, v90, -v64
	v_add_f32_e32 v18, v33, v29
	v_sub_f32_e32 v26, v24, v26
	v_add_f32_e32 v6, v6, v33
	v_add_f32_e32 v24, v25, v27
	v_sub_f32_e32 v92, v2, v123
	v_add_f32_e32 v2, v65, v114
	v_add_f32_e32 v95, v20, v34
	v_sub_f32_e32 v65, v20, v34
	v_sub_f32_e32 v20, v32, v28
	v_add_f32_e32 v6, v6, v29
	v_mul_f32_e32 v31, 0x3e9e377a, v31
	v_fma_f32 v18, -0.5, v18, v9
	v_fmac_f32_e32 v9, -0.5, v24
	v_sub_f32_e32 v64, v23, v121
	v_sub_f32_e32 v23, v25, v33
	v_sub_f32_e32 v28, v33, v25
	v_sub_f32_e32 v25, v27, v29
	v_sub_f32_e32 v29, v29, v27
	v_add_f32_e32 v6, v6, v27
	v_fma_f32 v27, 0xbf737871, v30, -v31
	v_fmamk_f32 v31, v26, 0xbf737871, v18
	v_fmamk_f32 v32, v20, 0x3f737871, v9
	v_fmac_f32_e32 v9, 0xbf737871, v20
	v_add_f32_e32 v2, v37, v2
	v_add_f32_e32 v30, v23, v25
	;; [unrolled: 1-line block ×3, first 2 shown]
	v_mul_f32_e32 v28, 0xbf167918, v116
	v_fmac_f32_e32 v31, 0xbf167918, v20
	v_fmac_f32_e32 v32, 0xbf167918, v26
	v_mul_f32_e32 v29, 0xbf737871, v110
	v_fmac_f32_e32 v9, 0x3f167918, v26
	v_fmac_f32_e32 v18, 0x3f737871, v26
	v_add_f32_e32 v2, v35, v2
	v_fmac_f32_e32 v28, 0x3f4f1bbd, v117
	v_fmac_f32_e32 v31, 0x3e9e377a, v30
	;; [unrolled: 1-line block ×6, first 2 shown]
	v_mul_f32_e32 v20, 0x3f4f1bbd, v113
	v_sub_f32_e32 v91, v36, v122
	v_add_f32_e32 v23, v6, v2
	v_add_f32_e32 v24, v31, v28
	;; [unrolled: 1-line block ×4, first 2 shown]
	v_fma_f32 v22, 0xbf167918, v22, -v20
	v_sub_f32_e32 v20, v9, v27
	v_add_f32_e32 v9, v3, v15
	ds_write2_b64 v94, v[95:96], v[91:92] offset0:2 offset1:3
	ds_write_b64 v94, v[64:65] offset:32
	ds_write2_b64 v101, v[23:24], v[25:26] offset1:1
	v_sub_f32_e32 v26, v6, v2
	v_sub_f32_e32 v12, v14, v12
	v_add_f32_e32 v6, v9, v17
	v_add_f32_e32 v9, v17, v11
	;; [unrolled: 1-line block ×3, first 2 shown]
	v_sub_f32_e32 v10, v16, v10
	v_sub_f32_e32 v16, v15, v17
	;; [unrolled: 1-line block ×3, first 2 shown]
	v_fma_f32 v15, -0.5, v9, v3
	v_add_f32_e32 v6, v6, v11
	v_sub_f32_e32 v9, v13, v11
	v_fmac_f32_e32 v3, -0.5, v14
	v_sub_f32_e32 v11, v11, v13
	v_fmamk_f32 v14, v12, 0xbf737871, v15
	v_add_f32_e32 v13, v6, v13
	v_fmac_f32_e32 v15, 0x3f737871, v12
	v_add_f32_e32 v6, v16, v9
	v_fmamk_f32 v9, v10, 0x3f737871, v3
	v_fmac_f32_e32 v3, 0xbf737871, v10
	v_fmac_f32_e32 v14, 0xbf167918, v10
	;; [unrolled: 1-line block ×3, first 2 shown]
	v_add_f32_e32 v10, v17, v11
	v_fmac_f32_e32 v9, 0xbf167918, v12
	v_fmac_f32_e32 v3, 0x3f167918, v12
	v_mov_b32_e32 v16, 0xcccd
	v_sub_f32_e32 v23, v31, v28
	v_add_f32_e32 v28, v21, v99
	v_fmac_f32_e32 v9, 0x3e9e377a, v10
	v_fmac_f32_e32 v3, 0x3e9e377a, v10
	v_mul_u32_u24_sdwa v10, v40, v16 dst_sel:DWORD dst_unused:UNUSED_PAD src0_sel:WORD_0 src1_sel:DWORD
	v_fmac_f32_e32 v14, 0x3e9e377a, v6
	v_add_f32_e32 v2, v19, v28
	v_fmac_f32_e32 v15, 0x3e9e377a, v6
	v_mul_f32_e32 v6, 0xbf167918, v119
	v_mul_f32_e32 v11, 0x3f4f1bbd, v98
	v_lshrrev_b32_e32 v113, 19, v10
	v_add_f32_e32 v2, v7, v2
	v_mul_f32_e32 v7, 0xbf737871, v97
	v_mul_f32_e32 v5, 0x3e9e377a, v5
	v_fmac_f32_e32 v6, 0x3f4f1bbd, v120
	v_fma_f32 v10, 0xbf167918, v8, -v11
	v_mul_lo_u16 v11, v113, 10
	v_fmac_f32_e32 v7, 0x3e9e377a, v118
	v_fma_f32 v12, 0xbf737871, v4, -v5
	v_add_f32_e32 v4, v14, v6
	v_sub_f32_e32 v5, v14, v6
	v_mov_b32_e32 v14, 5
	v_mul_u32_u24_sdwa v17, v62, v16 dst_sel:DWORD dst_unused:UNUSED_PAD src0_sel:WORD_0 src1_sel:DWORD
	v_sub_nc_u16 v122, v40, v11
	v_sub_f32_e32 v6, v9, v7
	v_add_f32_e32 v7, v9, v7
	v_add_f32_e32 v8, v3, v12
	v_sub_f32_e32 v9, v3, v12
	v_add_f32_e32 v3, v13, v2
	v_sub_f32_e32 v12, v13, v2
	v_lshrrev_b32_e32 v115, 19, v17
	v_mul_u32_u24_sdwa v2, v122, v14 dst_sel:DWORD dst_unused:UNUSED_PAD src0_sel:WORD_0 src1_sel:DWORD
	v_fmac_f32_e32 v18, 0x3e9e377a, v30
	v_sub_f32_e32 v24, v32, v29
	v_add_f32_e32 v11, v15, v10
	v_mul_lo_u16 v13, v115, 10
	v_lshlrev_b32_e32 v90, 3, v2
	v_mul_lo_u16 v2, 0x67, v0
	v_add_f32_e32 v25, v18, v22
	v_sub_f32_e32 v10, v15, v10
	v_sub_nc_u16 v118, v62, v13
	v_sub_f32_e32 v21, v18, v22
	v_lshrrev_b16 v126, 10, v2
	ds_write2_b64 v101, v[25:26], v[23:24] offset0:2 offset1:3
	ds_write_b64 v101, v[20:21] offset:32
	ds_write2_b64 v102, v[3:4], v[7:8] offset1:1
	ds_write2_b64 v102, v[11:12], v[5:6] offset0:2 offset1:3
	ds_write_b64 v102, v[9:10] offset:32
	s_waitcnt lgkmcnt(0)
	s_barrier
	buffer_gl0_inv
	v_mul_u32_u24_sdwa v2, v118, v14 dst_sel:DWORD dst_unused:UNUSED_PAD src0_sel:WORD_0 src1_sel:DWORD
	s_clause 0x1
	global_load_dwordx4 v[130:133], v90, s[8:9]
	global_load_dwordx4 v[26:29], v90, s[8:9] offset:16
	v_mul_lo_u16 v3, v126, 10
	v_and_b32_e32 v110, 0xff, v38
	v_lshlrev_b32_e32 v91, 3, v2
	v_cmp_gt_u32_e64 s0, 0x78, v0
	v_sub_nc_u16 v129, v0, v3
	v_mul_lo_u16 v2, 0xcd, v110
	s_clause 0x1
	global_load_dwordx4 v[10:13], v91, s[8:9]
	global_load_dwordx4 v[18:21], v91, s[8:9] offset:16
	v_mul_u32_u24_sdwa v3, v129, v14 dst_sel:DWORD dst_unused:UNUSED_PAD src0_sel:BYTE_0 src1_sel:DWORD
	v_lshrrev_b16 v128, 11, v2
	v_lshlrev_b32_e32 v22, 3, v3
	v_mul_lo_u16 v2, v128, 10
	global_load_dwordx4 v[6:9], v22, s[8:9]
	v_sub_nc_u16 v127, v38, v2
	global_load_dwordx4 v[2:5], v22, s[8:9] offset:16
	v_mul_u32_u24_sdwa v15, v127, v14 dst_sel:DWORD dst_unused:UNUSED_PAD src0_sel:BYTE_0 src1_sel:DWORD
	v_lshlrev_b32_e32 v92, 3, v15
	v_mul_u32_u24_sdwa v15, v60, v16 dst_sel:DWORD dst_unused:UNUSED_PAD src0_sel:WORD_0 src1_sel:DWORD
	global_load_dwordx4 v[30:33], v92, s[8:9] offset:16
	v_lshrrev_b32_e32 v125, 19, v15
	v_mul_lo_u16 v15, v125, 10
	v_sub_nc_u16 v124, v60, v15
	v_mul_u32_u24_sdwa v14, v124, v14 dst_sel:DWORD dst_unused:UNUSED_PAD src0_sel:WORD_0 src1_sel:DWORD
	v_lshlrev_b32_e32 v98, 3, v14
	s_clause 0x7
	global_load_dwordx4 v[14:17], v98, s[8:9] offset:16
	global_load_dwordx2 v[64:65], v22, s[8:9] offset:32
	global_load_dwordx4 v[34:37], v98, s[8:9]
	global_load_dwordx4 v[22:25], v92, s[8:9]
	global_load_dwordx2 v[92:93], v92, s[8:9] offset:32
	global_load_dwordx2 v[94:95], v90, s[8:9] offset:32
	;; [unrolled: 1-line block ×4, first 2 shown]
	ds_read2st64_b32 v[134:135], v103 offset0:14 offset1:16
	ds_read2st64_b32 v[136:137], v103 offset0:24 offset1:26
	ds_read_b32 v138, v104
	s_waitcnt vmcnt(14) lgkmcnt(2)
	v_mul_f32_e32 v98, v134, v131
	s_waitcnt lgkmcnt(1)
	v_mul_f32_e32 v99, v136, v133
	v_mul_f32_e32 v120, v86, v133
	ds_read_b32 v133, v105
	v_mul_f32_e32 v116, v88, v131
	v_fma_f32 v114, v88, v130, -v98
	v_fma_f32 v119, v86, v132, -v99
	ds_read2st64_b32 v[98:99], v103 offset0:28 offset1:30
	v_fmac_f32_e32 v120, v136, v132
	s_waitcnt vmcnt(12)
	v_mul_f32_e32 v86, v135, v11
	v_mul_f32_e32 v88, v89, v11
	;; [unrolled: 1-line block ×3, first 2 shown]
	v_fmac_f32_e32 v116, v134, v130
	v_fma_f32 v89, v89, v10, -v86
	v_fmac_f32_e32 v88, v135, v10
	ds_read2st64_b32 v[10:11], v103 offset0:40 offset1:42
	v_fma_f32 v117, v87, v12, -v117
	v_mul_f32_e32 v87, v87, v13
	ds_read_b32 v121, v106
	ds_read_b32 v86, v107
	;; [unrolled: 1-line block ×4, first 2 shown]
	ds_read2st64_b32 v[130:131], v103 offset0:32 offset1:34
	s_waitcnt vmcnt(10) lgkmcnt(8)
	v_mul_f32_e32 v13, v138, v7
	v_mul_f32_e32 v134, v112, v7
	s_waitcnt lgkmcnt(7)
	v_mul_f32_e32 v7, v133, v9
	v_fmac_f32_e32 v87, v137, v12
	v_mul_f32_e32 v12, v111, v9
	v_fma_f32 v13, v112, v6, -v13
	s_waitcnt vmcnt(9) lgkmcnt(6)
	v_mul_f32_e32 v9, v99, v3
	v_mul_f32_e32 v112, v75, v3
	v_fmac_f32_e32 v134, v138, v6
	v_fma_f32 v111, v111, v8, -v7
	ds_read2st64_b32 v[6:7], v103 offset0:44 offset1:46
	v_fma_f32 v75, v75, v2, -v9
	v_fmac_f32_e32 v112, v99, v2
	ds_read2st64_b32 v[2:3], v103 offset0:36 offset1:38
	v_fmac_f32_e32 v12, v133, v8
	s_waitcnt lgkmcnt(7)
	v_mul_f32_e32 v8, v10, v5
	v_mul_f32_e32 v133, v82, v5
	s_waitcnt vmcnt(8)
	v_mul_f32_e32 v5, v11, v33
	v_mul_f32_e32 v33, v83, v33
	;; [unrolled: 1-line block ×3, first 2 shown]
	v_fma_f32 v82, v82, v4, -v8
	s_waitcnt lgkmcnt(2)
	v_mul_f32_e32 v8, v130, v31
	v_fmac_f32_e32 v133, v10, v4
	v_fma_f32 v83, v83, v32, -v5
	ds_read2st64_b32 v[4:5], v103 offset0:48 offset1:50
	v_mul_f32_e32 v31, v78, v31
	v_fma_f32 v78, v78, v30, -v8
	v_mul_f32_e32 v8, v131, v27
	v_fmac_f32_e32 v33, v11, v32
	v_mul_f32_e32 v27, v79, v27
	s_waitcnt lgkmcnt(2)
	v_mul_f32_e32 v9, v6, v29
	v_fmac_f32_e32 v99, v6, v28
	v_fma_f32 v29, v79, v26, -v8
	v_mul_f32_e32 v8, v7, v21
	v_mul_f32_e32 v21, v85, v21
	s_waitcnt lgkmcnt(1)
	v_mul_f32_e32 v6, v2, v19
	v_fma_f32 v84, v84, v28, -v9
	v_mul_f32_e32 v19, v80, v19
	v_fma_f32 v85, v85, v20, -v8
	ds_read2st64_b32 v[8:9], v103 offset0:18 offset1:22
	v_fmac_f32_e32 v21, v7, v20
	v_fma_f32 v20, v80, v18, -v6
	s_waitcnt vmcnt(7)
	v_mul_f32_e32 v6, v3, v15
	v_fmac_f32_e32 v19, v2, v18
	s_waitcnt lgkmcnt(1)
	v_mul_f32_e32 v2, v4, v17
	v_mul_f32_e32 v80, v76, v17
	ds_read2st64_b32 v[10:11], v103 offset0:52 offset1:54
	v_fma_f32 v17, v81, v14, -v6
	ds_read2st64_b32 v[6:7], v103 offset1:12
	v_fmac_f32_e32 v27, v131, v26
	v_mul_f32_e32 v15, v81, v15
	s_waitcnt vmcnt(6)
	v_mul_f32_e32 v26, v77, v65
	v_mul_f32_e32 v18, v5, v65
	v_fma_f32 v65, v76, v16, -v2
	v_fmac_f32_e32 v80, v4, v16
	v_fmac_f32_e32 v15, v3, v14
	;; [unrolled: 1-line block ×3, first 2 shown]
	s_waitcnt vmcnt(5)
	v_mul_f32_e32 v5, v98, v37
	ds_read2st64_b32 v[2:3], v103 offset0:56 offset1:58
	v_fma_f32 v4, v77, v64, -v18
	v_mul_f32_e32 v37, v74, v37
	s_waitcnt lgkmcnt(3)
	v_mul_f32_e32 v14, v8, v35
	v_mul_f32_e32 v35, v72, v35
	v_fma_f32 v64, v74, v36, -v5
	s_waitcnt vmcnt(4)
	v_mul_f32_e32 v5, v9, v25
	v_fmac_f32_e32 v37, v98, v36
	v_fma_f32 v36, v72, v34, -v14
	v_fmac_f32_e32 v35, v8, v34
	s_waitcnt vmcnt(3) lgkmcnt(2)
	v_mul_f32_e32 v8, v10, v93
	v_fma_f32 v72, v73, v24, -v5
	s_waitcnt lgkmcnt(1)
	v_mul_f32_e32 v5, v7, v23
	v_mul_f32_e32 v23, v67, v23
	;; [unrolled: 1-line block ×3, first 2 shown]
	v_add_f32_e32 v14, v112, v26
	v_mul_f32_e32 v34, v73, v25
	v_fma_f32 v93, v67, v22, -v5
	v_fmac_f32_e32 v23, v7, v22
	v_fma_f32 v5, v70, v92, -v8
	v_fmac_f32_e32 v81, v10, v92
	s_waitcnt vmcnt(2)
	v_mul_f32_e32 v22, v71, v95
	s_waitcnt vmcnt(1)
	v_mul_f32_e32 v70, v68, v97
	v_add_f32_e32 v10, v75, v4
	v_mul_f32_e32 v7, v11, v95
	s_waitcnt lgkmcnt(0)
	v_mul_f32_e32 v8, v2, v97
	v_fmac_f32_e32 v22, v11, v94
	v_fmac_f32_e32 v70, v2, v96
	v_add_f32_e32 v2, v111, v82
	v_add_f32_e32 v11, v13, v75
	v_fmac_f32_e32 v13, -0.5, v10
	v_sub_f32_e32 v10, v112, v26
	v_add_f32_e32 v18, v134, v112
	v_fmac_f32_e32 v134, -0.5, v14
	v_sub_f32_e32 v14, v75, v4
	v_fmac_f32_e32 v34, v9, v24
	v_add_f32_e32 v16, v66, v111
	v_fmamk_f32 v24, v10, 0x3f5db3d7, v13
	v_fmac_f32_e32 v13, 0xbf5db3d7, v10
	v_fmac_f32_e32 v66, -0.5, v2
	v_sub_f32_e32 v2, v12, v133
	v_fmamk_f32 v10, v14, 0xbf5db3d7, v134
	v_fmac_f32_e32 v134, 0x3f5db3d7, v14
	v_add_f32_e32 v25, v12, v133
	s_waitcnt vmcnt(0)
	v_mul_f32_e32 v9, v3, v91
	v_mul_f32_e32 v91, v69, v91
	v_fmamk_f32 v28, v2, 0x3f5db3d7, v66
	v_fmac_f32_e32 v66, 0xbf5db3d7, v2
	v_add_f32_e32 v2, v6, v12
	v_fmac_f32_e32 v6, -0.5, v25
	v_sub_f32_e32 v12, v111, v82
	v_mul_f32_e32 v25, -0.5, v134
	v_mul_f32_e32 v14, -0.5, v13
	v_fma_f32 v9, v69, v90, -v9
	v_fmac_f32_e32 v91, v3, v90
	v_fmamk_f32 v90, v12, 0xbf5db3d7, v6
	v_fmac_f32_e32 v6, 0x3f5db3d7, v12
	v_mov_b32_e32 v12, 0xf0
	v_mov_b32_e32 v32, 2
	v_fmac_f32_e32 v25, 0xbf5db3d7, v13
	v_mul_f32_e32 v13, 0x3f5db3d7, v10
	v_fmac_f32_e32 v31, v130, v30
	v_fmac_f32_e32 v14, 0x3f5db3d7, v134
	v_add_f32_e32 v16, v16, v82
	v_mul_u32_u24_sdwa v30, v126, v12 dst_sel:DWORD dst_unused:UNUSED_PAD src0_sel:WORD_0 src1_sel:DWORD
	v_lshlrev_b32_sdwa v67, v32, v129 dst_sel:DWORD dst_unused:UNUSED_PAD src0_sel:DWORD src1_sel:BYTE_0
	v_add_f32_e32 v4, v11, v4
	v_fmac_f32_e32 v13, 0.5, v24
	v_add_f32_e32 v3, v66, v14
	v_sub_f32_e32 v11, v66, v14
	v_add3_u32 v92, 0, v30, v67
	v_add_f32_e32 v14, v16, v4
	v_add_f32_e32 v30, v28, v13
	s_barrier
	buffer_gl0_inv
	v_fma_f32 v7, v71, v94, -v7
	ds_write2_b32 v92, v14, v30 offset1:10
	v_add_f32_e32 v14, v31, v81
	v_add_f32_e32 v82, v6, v25
	v_sub_f32_e32 v94, v6, v25
	v_add_f32_e32 v25, v78, v5
	v_add_f32_e32 v95, v23, v31
	v_fmac_f32_e32 v23, -0.5, v14
	v_sub_f32_e32 v14, v78, v5
	v_sub_f32_e32 v6, v28, v13
	v_add_f32_e32 v28, v93, v78
	v_fmac_f32_e32 v93, -0.5, v25
	v_sub_f32_e32 v25, v31, v81
	v_fma_f32 v8, v68, v96, -v8
	v_add_f32_e32 v13, v72, v83
	v_fmamk_f32 v96, v14, 0xbf5db3d7, v23
	v_sub_f32_e32 v4, v16, v4
	v_fmamk_f32 v97, v25, 0x3f5db3d7, v93
	v_fmac_f32_e32 v93, 0xbf5db3d7, v25
	v_add_f32_e32 v16, v109, v72
	v_fmac_f32_e32 v109, -0.5, v13
	v_add_f32_e32 v5, v28, v5
	v_mul_f32_e32 v25, 0x3f5db3d7, v96
	v_sub_f32_e32 v28, v34, v33
	v_fmac_f32_e32 v23, 0x3f5db3d7, v14
	v_mul_f32_e32 v14, -0.5, v93
	v_mul_u32_u24_sdwa v12, v128, v12 dst_sel:DWORD dst_unused:UNUSED_PAD src0_sel:WORD_0 src1_sel:DWORD
	v_lshlrev_b32_sdwa v13, v32, v127 dst_sel:DWORD dst_unused:UNUSED_PAD src0_sel:DWORD src1_sel:BYTE_0
	v_add_f32_e32 v16, v16, v83
	v_fmac_f32_e32 v25, 0.5, v97
	v_fmamk_f32 v30, v28, 0x3f5db3d7, v109
	v_fmac_f32_e32 v109, 0xbf5db3d7, v28
	v_fmac_f32_e32 v14, 0x3f5db3d7, v23
	v_add3_u32 v98, 0, v12, v13
	v_add_f32_e32 v12, v16, v5
	v_add_f32_e32 v13, v30, v25
	v_sub_f32_e32 v5, v16, v5
	v_add_f32_e32 v16, v109, v14
	v_sub_f32_e32 v25, v30, v25
	v_sub_f32_e32 v14, v109, v14
	ds_write2_b32 v92, v3, v4 offset0:20 offset1:30
	ds_write2_b32 v92, v6, v11 offset0:40 offset1:50
	ds_write2_b32 v98, v12, v13 offset1:10
	ds_write2_b32 v98, v16, v5 offset0:20 offset1:30
	ds_write2_b32 v98, v25, v14 offset0:40 offset1:50
	v_add_f32_e32 v4, v27, v22
	v_add_f32_e32 v6, v29, v7
	;; [unrolled: 1-line block ×5, first 2 shown]
	v_fmac_f32_e32 v116, -0.5, v4
	v_sub_f32_e32 v4, v29, v7
	v_fmac_f32_e32 v114, -0.5, v6
	v_sub_f32_e32 v6, v27, v22
	v_add_f32_e32 v5, v108, v119
	v_fmac_f32_e32 v108, -0.5, v3
	v_fmamk_f32 v111, v4, 0xbf5db3d7, v116
	v_add_f32_e32 v3, v11, v7
	v_fmamk_f32 v112, v6, 0x3f5db3d7, v114
	v_fmac_f32_e32 v114, 0xbf5db3d7, v6
	v_sub_f32_e32 v12, v120, v99
	v_mul_f32_e32 v11, 0x3f5db3d7, v111
	v_mul_u32_u24_e32 v7, 0xf0, v113
	v_lshlrev_b32_sdwa v6, v32, v122 dst_sel:DWORD dst_unused:UNUSED_PAD src0_sel:DWORD src1_sel:WORD_0
	v_fmac_f32_e32 v116, 0x3f5db3d7, v4
	v_mul_f32_e32 v4, -0.5, v114
	v_fmac_f32_e32 v11, 0.5, v112
	v_fmamk_f32 v13, v12, 0x3f5db3d7, v108
	v_add_f32_e32 v5, v5, v84
	v_fmac_f32_e32 v108, 0xbf5db3d7, v12
	v_fmac_f32_e32 v4, 0x3f5db3d7, v116
	v_add3_u32 v113, 0, v7, v6
	v_add_f32_e32 v7, v13, v11
	v_sub_f32_e32 v11, v13, v11
	v_add_f32_e32 v13, v19, v70
	v_add_f32_e32 v16, v20, v8
	;; [unrolled: 1-line block ×3, first 2 shown]
	v_sub_f32_e32 v3, v5, v3
	v_add_f32_e32 v5, v108, v4
	v_sub_f32_e32 v4, v108, v4
	v_add_f32_e32 v108, v88, v19
	v_fmac_f32_e32 v88, -0.5, v13
	v_sub_f32_e32 v13, v20, v8
	v_add_f32_e32 v12, v117, v85
	v_add_f32_e32 v25, v89, v20
	v_fmac_f32_e32 v89, -0.5, v16
	v_sub_f32_e32 v16, v19, v70
	v_fmamk_f32 v20, v13, 0xbf5db3d7, v88
	v_add_f32_e32 v14, v54, v117
	v_fmac_f32_e32 v54, -0.5, v12
	v_mul_u32_u24_e32 v12, 0xf0, v115
	v_fmamk_f32 v115, v16, 0x3f5db3d7, v89
	v_fmac_f32_e32 v89, 0xbf5db3d7, v16
	v_add_f32_e32 v8, v25, v8
	v_mul_f32_e32 v19, 0x3f5db3d7, v20
	v_sub_f32_e32 v25, v87, v21
	v_fmac_f32_e32 v88, 0x3f5db3d7, v13
	v_mul_f32_e32 v13, -0.5, v89
	v_lshlrev_b32_sdwa v16, v32, v118 dst_sel:DWORD dst_unused:UNUSED_PAD src0_sel:DWORD src1_sel:WORD_0
	v_add_f32_e32 v14, v14, v85
	v_fmac_f32_e32 v19, 0.5, v115
	v_fmamk_f32 v27, v25, 0x3f5db3d7, v54
	v_fmac_f32_e32 v54, 0xbf5db3d7, v25
	v_fmac_f32_e32 v13, 0x3f5db3d7, v88
	v_add3_u32 v118, 0, v12, v16
	v_add_f32_e32 v12, v14, v8
	v_add_f32_e32 v16, v27, v19
	v_sub_f32_e32 v8, v14, v8
	v_add_f32_e32 v14, v54, v13
	ds_write2_b32 v113, v6, v7 offset1:10
	ds_write2_b32 v113, v5, v3 offset0:20 offset1:30
	ds_write2_b32 v113, v11, v4 offset0:40 offset1:50
	ds_write2_b32 v118, v12, v16 offset1:10
	ds_write2_b32 v118, v14, v8 offset0:20 offset1:30
	v_add_f32_e32 v8, v17, v9
	v_add_f32_e32 v5, v64, v65
	;; [unrolled: 1-line block ×4, first 2 shown]
	v_sub_f32_e32 v4, v54, v13
	v_fmac_f32_e32 v36, -0.5, v8
	v_sub_f32_e32 v8, v15, v91
	v_add_f32_e32 v7, v52, v64
	v_add_f32_e32 v54, v35, v15
	v_fmac_f32_e32 v35, -0.5, v6
	v_sub_f32_e32 v6, v17, v9
	v_fmac_f32_e32 v52, -0.5, v5
	v_add_f32_e32 v5, v11, v9
	v_mul_u32_u24_e32 v9, 0xf0, v125
	v_fmamk_f32 v125, v8, 0x3f5db3d7, v36
	v_fmac_f32_e32 v36, 0xbf5db3d7, v8
	v_fmamk_f32 v122, v6, 0xbf5db3d7, v35
	v_sub_f32_e32 v12, v37, v80
	v_fmac_f32_e32 v35, 0x3f5db3d7, v6
	v_lshlrev_b32_sdwa v8, v32, v124 dst_sel:DWORD dst_unused:UNUSED_PAD src0_sel:DWORD src1_sel:WORD_0
	v_mul_f32_e32 v6, -0.5, v36
	v_add_f32_e32 v7, v7, v65
	v_fmamk_f32 v13, v12, 0x3f5db3d7, v52
	v_fmac_f32_e32 v52, 0xbf5db3d7, v12
	v_add_f32_e32 v130, v34, v33
	v_fmac_f32_e32 v6, 0x3f5db3d7, v35
	v_add3_u32 v124, 0, v9, v8
	v_add_f32_e32 v8, v7, v5
	v_sub_f32_e32 v5, v7, v5
	v_mul_f32_e32 v11, 0x3f5db3d7, v122
	v_add_f32_e32 v7, v52, v6
	v_sub_f32_e32 v6, v52, v6
	v_mul_f32_e32 v52, 0xbf5db3d7, v24
	v_add_f32_e32 v34, v132, v34
	v_fmac_f32_e32 v132, -0.5, v130
	v_mul_f32_e32 v97, 0xbf5db3d7, v97
	v_sub_f32_e32 v72, v72, v83
	v_add_f32_e32 v126, v2, v133
	v_add_f32_e32 v127, v18, v26
	v_fmac_f32_e32 v52, 0.5, v10
	v_mul_f32_e32 v23, -0.5, v23
	v_fmac_f32_e32 v11, 0.5, v125
	v_add_f32_e32 v33, v34, v33
	v_add_f32_e32 v34, v95, v81
	v_fmac_f32_e32 v97, 0.5, v96
	v_fmamk_f32 v81, v72, 0xbf5db3d7, v132
	v_sub_f32_e32 v3, v27, v19
	v_lshl_add_u32 v28, v47, 2, 0
	v_add_f32_e32 v128, v126, v127
	v_add_f32_e32 v129, v90, v52
	v_sub_f32_e32 v126, v126, v127
	v_fmac_f32_e32 v132, 0x3f5db3d7, v72
	v_fmac_f32_e32 v23, 0xbf5db3d7, v93
	v_add_f32_e32 v9, v13, v11
	v_sub_f32_e32 v11, v13, v11
	v_lshl_add_u32 v24, v58, 2, 0
	v_lshl_add_u32 v29, v51, 2, 0
	v_sub_f32_e32 v52, v90, v52
	v_lshl_add_u32 v25, v42, 2, 0
	v_lshl_add_u32 v30, v53, 2, 0
	;; [unrolled: 1-line block ×4, first 2 shown]
	v_add_f32_e32 v72, v33, v34
	v_add_f32_e32 v83, v81, v97
	ds_write2_b32 v118, v3, v4 offset0:40 offset1:50
	ds_write2_b32 v124, v8, v9 offset1:10
	ds_write2_b32 v124, v7, v5 offset0:20 offset1:30
	ds_write2_b32 v124, v11, v6 offset0:40 offset1:50
	s_waitcnt lgkmcnt(0)
	s_barrier
	buffer_gl0_inv
	ds_read_b32 v74, v104
	ds_read_b32 v75, v24
	;; [unrolled: 1-line block ×8, first 2 shown]
	v_lshl_add_u32 v31, v55, 2, 0
	ds_read_b32 v68, v28
	ds_read_b32 v19, v29
	;; [unrolled: 1-line block ×6, first 2 shown]
	ds_read2st64_b32 v[2:3], v103 offset1:30
	ds_read2st64_b32 v[16:17], v103 offset0:32 offset1:34
	ds_read2st64_b32 v[14:15], v103 offset0:36 offset1:38
	ds_read2st64_b32 v[12:13], v103 offset0:40 offset1:42
	ds_read2st64_b32 v[10:11], v103 offset0:44 offset1:46
	ds_read2st64_b32 v[8:9], v103 offset0:48 offset1:50
	ds_read2st64_b32 v[6:7], v103 offset0:52 offset1:54
	ds_read2st64_b32 v[4:5], v103 offset0:56 offset1:58
	s_waitcnt lgkmcnt(0)
	s_barrier
	buffer_gl0_inv
	ds_write2_b32 v92, v128, v129 offset1:10
	v_sub_f32_e32 v33, v33, v34
	v_add_f32_e32 v34, v132, v23
	ds_write2_b32 v92, v82, v126 offset0:20 offset1:30
	ds_write2_b32 v92, v52, v94 offset0:40 offset1:50
	v_add_f32_e32 v52, v120, v99
	ds_write2_b32 v98, v72, v83 offset1:10
	ds_write2_b32 v98, v34, v33 offset0:20 offset1:30
	v_sub_f32_e32 v33, v81, v97
	v_sub_f32_e32 v23, v132, v23
	v_add_f32_e32 v34, v123, v120
	v_fmac_f32_e32 v123, -0.5, v52
	v_sub_f32_e32 v72, v119, v84
	v_add_f32_e32 v82, v87, v21
	v_mul_f32_e32 v52, 0xbf5db3d7, v112
	ds_write2_b32 v98, v33, v23 offset0:40 offset1:50
	v_mul_f32_e32 v23, -0.5, v116
	v_add_f32_e32 v34, v34, v99
	v_add_f32_e32 v22, v109, v22
	v_fmamk_f32 v81, v72, 0xbf5db3d7, v123
	v_fmac_f32_e32 v123, 0x3f5db3d7, v72
	v_add_f32_e32 v72, v121, v87
	v_fmac_f32_e32 v121, -0.5, v82
	v_mul_f32_e32 v82, 0xbf5db3d7, v115
	v_sub_f32_e32 v84, v117, v85
	v_fmac_f32_e32 v52, 0.5, v111
	v_fmac_f32_e32 v23, 0xbf5db3d7, v114
	v_add_f32_e32 v33, v34, v22
	v_sub_f32_e32 v22, v34, v22
	v_add_f32_e32 v21, v72, v21
	v_add_f32_e32 v34, v108, v70
	v_fmac_f32_e32 v82, 0.5, v20
	v_fmamk_f32 v20, v84, 0xbf5db3d7, v121
	v_add_f32_e32 v83, v81, v52
	v_add_f32_e32 v70, v123, v23
	v_sub_f32_e32 v52, v81, v52
	v_sub_f32_e32 v23, v123, v23
	v_add_f32_e32 v72, v21, v34
	v_add_f32_e32 v81, v20, v82
	ds_write2_b32 v113, v33, v83 offset1:10
	ds_write2_b32 v113, v70, v22 offset0:20 offset1:30
	ds_write2_b32 v113, v52, v23 offset0:40 offset1:50
	ds_write2_b32 v118, v72, v81 offset1:10
	v_add_f32_e32 v23, v37, v80
	v_mul_f32_e32 v22, -0.5, v88
	v_add_f32_e32 v33, v86, v37
	v_mul_f32_e32 v37, 0xbf5db3d7, v125
	v_mul_lo_u16 v70, 0x89, v110
	v_fmac_f32_e32 v86, -0.5, v23
	v_sub_f32_e32 v23, v64, v65
	v_fmac_f32_e32 v121, 0x3f5db3d7, v84
	v_fmac_f32_e32 v22, 0xbf5db3d7, v89
	v_add_f32_e32 v33, v33, v80
	v_fmac_f32_e32 v37, 0.5, v122
	v_fmamk_f32 v52, v23, 0xbf5db3d7, v86
	v_lshrrev_b16 v80, 13, v70
	v_sub_f32_e32 v21, v21, v34
	v_add_f32_e32 v34, v121, v22
	v_mul_f32_e32 v35, -0.5, v35
	v_add_f32_e32 v54, v54, v91
	v_fmac_f32_e32 v86, 0x3f5db3d7, v23
	v_add_f32_e32 v23, v52, v37
	v_sub_f32_e32 v37, v52, v37
	v_mul_lo_u16 v52, v80, 60
	v_sub_f32_e32 v20, v20, v82
	v_sub_f32_e32 v22, v121, v22
	v_fmac_f32_e32 v35, 0xbf5db3d7, v36
	ds_write2_b32 v118, v34, v21 offset0:20 offset1:30
	v_add_f32_e32 v21, v33, v54
	v_sub_f32_e32 v34, v33, v54
	v_mov_b32_e32 v33, 3
	v_sub_nc_u16 v82, v38, v52
	v_add_f32_e32 v36, v86, v35
	ds_write2_b32 v118, v20, v22 offset0:40 offset1:50
	ds_write2_b32 v124, v21, v23 offset1:10
	v_sub_f32_e32 v35, v86, v35
	v_lshlrev_b32_sdwa v21, v33, v82 dst_sel:DWORD dst_unused:UNUSED_PAD src0_sel:DWORD src1_sel:BYTE_0
	ds_write2_b32 v124, v36, v34 offset0:20 offset1:30
	ds_write2_b32 v124, v37, v35 offset0:40 offset1:50
	s_waitcnt lgkmcnt(0)
	s_barrier
	buffer_gl0_inv
	global_load_dwordx2 v[83:84], v21, s[8:9] offset:400
	v_mov_b32_e32 v99, 0x8889
	ds_read2st64_b32 v[97:98], v103 offset0:32 offset1:34
	v_lshrrev_b16 v70, 14, v70
	v_mul_u32_u24_sdwa v72, v40, v99 dst_sel:DWORD dst_unused:UNUSED_PAD src0_sel:WORD_0 src1_sel:DWORD
	v_mul_u32_u24_sdwa v37, v42, v99 dst_sel:DWORD dst_unused:UNUSED_PAD src0_sel:WORD_0 src1_sel:DWORD
	;; [unrolled: 1-line block ×3, first 2 shown]
	v_lshrrev_b32_e32 v81, 21, v72
	v_lshrrev_b32_e32 v130, 21, v37
	;; [unrolled: 1-line block ×4, first 2 shown]
	v_mul_lo_u16 v20, v81, 60
	v_mul_lo_u16 v36, v130, 60
	;; [unrolled: 1-line block ×3, first 2 shown]
	v_sub_nc_u16 v122, v40, v20
	v_sub_nc_u16 v132, v42, v36
	;; [unrolled: 1-line block ×3, first 2 shown]
	v_lshlrev_b32_sdwa v20, v33, v122 dst_sel:DWORD dst_unused:UNUSED_PAD src0_sel:DWORD src1_sel:WORD_0
	v_lshlrev_b32_sdwa v36, v33, v132 dst_sel:DWORD dst_unused:UNUSED_PAD src0_sel:DWORD src1_sel:WORD_0
	;; [unrolled: 1-line block ×3, first 2 shown]
	s_clause 0x1
	global_load_dwordx2 v[95:96], v36, s[8:9] offset:400
	global_load_dwordx2 v[85:86], v20, s[8:9] offset:400
	v_mul_u32_u24_sdwa v21, v62, v99 dst_sel:DWORD dst_unused:UNUSED_PAD src0_sel:WORD_0 src1_sel:DWORD
	v_mul_u32_u24_sdwa v20, v60, v99 dst_sel:DWORD dst_unused:UNUSED_PAD src0_sel:WORD_0 src1_sel:DWORD
	;; [unrolled: 1-line block ×3, first 2 shown]
	v_lshrrev_b32_e32 v123, 21, v21
	v_lshrrev_b32_e32 v124, 21, v20
	;; [unrolled: 1-line block ×3, first 2 shown]
	v_mul_lo_u16 v22, v123, 60
	v_mul_lo_u16 v65, v136, 60
	v_sub_nc_u16 v125, v62, v22
	v_mul_lo_u16 v22, v124, 60
	v_sub_nc_u16 v140, v44, v65
	v_mul_u32_u24_sdwa v65, v51, v99 dst_sel:DWORD dst_unused:UNUSED_PAD src0_sel:WORD_0 src1_sel:DWORD
	v_lshlrev_b32_sdwa v23, v33, v125 dst_sel:DWORD dst_unused:UNUSED_PAD src0_sel:DWORD src1_sel:WORD_0
	v_sub_nc_u16 v126, v60, v22
	v_lshlrev_b32_sdwa v112, v33, v140 dst_sel:DWORD dst_unused:UNUSED_PAD src0_sel:DWORD src1_sel:WORD_0
	v_lshrrev_b32_e32 v142, 21, v65
	global_load_dwordx2 v[87:88], v23, s[8:9] offset:400
	v_lshlrev_b32_sdwa v22, v33, v126 dst_sel:DWORD dst_unused:UNUSED_PAD src0_sel:DWORD src1_sel:WORD_0
	global_load_dwordx2 v[112:113], v112, s[8:9] offset:400
	v_mul_lo_u16 v116, v142, 60
	global_load_dwordx2 v[89:90], v22, s[8:9] offset:400
	v_mul_u32_u24_sdwa v22, v56, v99 dst_sel:DWORD dst_unused:UNUSED_PAD src0_sel:WORD_0 src1_sel:DWORD
	v_mul_u32_u24_sdwa v23, v58, v99 dst_sel:DWORD dst_unused:UNUSED_PAD src0_sel:WORD_0 src1_sel:DWORD
	v_sub_nc_u16 v145, v51, v116
	v_lshrrev_b32_e32 v127, 21, v22
	v_lshrrev_b32_e32 v128, 21, v23
	v_lshlrev_b32_sdwa v119, v33, v145 dst_sel:DWORD dst_unused:UNUSED_PAD src0_sel:DWORD src1_sel:WORD_0
	v_mul_lo_u16 v34, v127, 60
	v_sub_nc_u16 v129, v56, v34
	v_mul_lo_u16 v34, v128, 60
	v_lshlrev_b32_sdwa v35, v33, v129 dst_sel:DWORD dst_unused:UNUSED_PAD src0_sel:DWORD src1_sel:WORD_0
	v_sub_nc_u16 v131, v58, v34
	global_load_dwordx2 v[91:92], v35, s[8:9] offset:400
	v_lshlrev_b32_sdwa v34, v33, v131 dst_sel:DWORD dst_unused:UNUSED_PAD src0_sel:DWORD src1_sel:WORD_0
	s_waitcnt vmcnt(6) lgkmcnt(0)
	v_mul_f32_e32 v118, v97, v84
	v_mul_f32_e32 v147, v16, v84
	v_fma_f32 v148, v16, v83, -v118
	s_clause 0x1
	global_load_dwordx2 v[118:119], v119, s[8:9] offset:400
	global_load_dwordx2 v[93:94], v34, s[8:9] offset:400
	v_mul_u32_u24_sdwa v35, v43, v99 dst_sel:DWORD dst_unused:UNUSED_PAD src0_sel:WORD_0 src1_sel:DWORD
	v_mul_u32_u24_sdwa v34, v47, v99 dst_sel:DWORD dst_unused:UNUSED_PAD src0_sel:WORD_0 src1_sel:DWORD
	v_fmac_f32_e32 v147, v97, v83
	v_lshrrev_b32_e32 v133, 21, v35
	v_lshrrev_b32_e32 v138, 21, v34
	v_mul_lo_u16 v54, v133, 60
	v_mul_lo_u16 v111, v138, 60
	v_sub_nc_u16 v135, v43, v54
	v_mul_lo_u16 v54, 0x89, v0
	v_sub_nc_u16 v141, v47, v111
	global_load_dwordx2 v[110:111], v110, s[8:9] offset:400
	v_lshlrev_b32_sdwa v64, v33, v135 dst_sel:DWORD dst_unused:UNUSED_PAD src0_sel:DWORD src1_sel:WORD_0
	v_lshrrev_b16 v139, 13, v54
	v_lshlrev_b32_sdwa v114, v33, v141 dst_sel:DWORD dst_unused:UNUSED_PAD src0_sel:DWORD src1_sel:WORD_0
	s_waitcnt vmcnt(7)
	v_mul_f32_e32 v16, v98, v86
	v_mul_lo_u16 v54, v139, 60
	s_clause 0x1
	global_load_dwordx2 v[114:115], v114, s[8:9] offset:400
	global_load_dwordx2 v[108:109], v64, s[8:9] offset:400
	v_mul_f32_e32 v86, v17, v86
	v_fma_f32 v97, v17, v85, -v16
	v_sub_nc_u16 v144, v0, v54
	v_mul_u32_u24_sdwa v54, v55, v99 dst_sel:DWORD dst_unused:UNUSED_PAD src0_sel:WORD_0 src1_sel:DWORD
	v_fmac_f32_e32 v86, v98, v85
	v_lshlrev_b32_sdwa v117, v33, v144 dst_sel:DWORD dst_unused:UNUSED_PAD src0_sel:DWORD src1_sel:BYTE_0
	v_lshrrev_b32_e32 v146, 21, v54
	global_load_dwordx2 v[116:117], v117, s[8:9] offset:400
	v_mul_lo_u16 v120, v146, 60
	v_sub_nc_u16 v149, v55, v120
	v_lshlrev_b32_sdwa v83, v33, v149 dst_sel:DWORD dst_unused:UNUSED_PAD src0_sel:DWORD src1_sel:WORD_0
	global_load_dwordx2 v[16:17], v83, s[8:9] offset:400
	v_mul_u32_u24_sdwa v64, v53, v99 dst_sel:DWORD dst_unused:UNUSED_PAD src0_sel:WORD_0 src1_sel:DWORD
	ds_read2st64_b32 v[83:84], v103 offset0:36 offset1:38
	v_lshrrev_b32_e32 v143, 21, v64
	v_mul_lo_u16 v99, v143, 60
	v_sub_nc_u16 v99, v53, v99
	v_lshlrev_b32_sdwa v121, v33, v99 dst_sel:DWORD dst_unused:UNUSED_PAD src0_sel:DWORD src1_sel:WORD_0
	s_waitcnt vmcnt(10) lgkmcnt(0)
	v_mul_f32_e32 v85, v83, v88
	v_mul_f32_e32 v88, v14, v88
	global_load_dwordx2 v[120:121], v121, s[8:9] offset:400
	v_fma_f32 v85, v14, v87, -v85
	s_waitcnt vmcnt(9)
	v_mul_f32_e32 v14, v84, v90
	v_fmac_f32_e32 v88, v83, v87
	v_mul_f32_e32 v90, v15, v90
	v_fma_f32 v87, v15, v89, -v14
	ds_read2st64_b32 v[14:15], v103 offset0:40 offset1:42
	v_fmac_f32_e32 v90, v84, v89
	ds_read2st64_b32 v[83:84], v103 offset0:44 offset1:46
	s_waitcnt vmcnt(8) lgkmcnt(1)
	v_mul_f32_e32 v89, v14, v92
	v_mul_f32_e32 v92, v12, v92
	v_fma_f32 v89, v12, v91, -v89
	v_fmac_f32_e32 v92, v14, v91
	s_waitcnt lgkmcnt(0)
	v_mul_f32_e32 v14, v83, v96
	s_waitcnt vmcnt(6)
	v_mul_f32_e32 v12, v15, v94
	v_mul_f32_e32 v94, v13, v94
	v_fma_f32 v91, v13, v93, -v12
	ds_read2st64_b32 v[12:13], v103 offset0:48 offset1:50
	v_fmac_f32_e32 v94, v15, v93
	v_mul_f32_e32 v93, v10, v96
	v_fma_f32 v96, v10, v95, -v14
	ds_read2st64_b32 v[14:15], v103 offset0:52 offset1:54
	v_fmac_f32_e32 v93, v83, v95
	s_waitcnt vmcnt(5) lgkmcnt(1)
	v_mul_f32_e32 v83, v12, v111
	s_waitcnt vmcnt(3)
	v_mul_f32_e32 v95, v11, v109
	v_mul_f32_e32 v10, v84, v109
	;; [unrolled: 1-line block ×3, first 2 shown]
	v_fma_f32 v8, v8, v110, -v83
	v_mul_f32_e32 v111, v7, v119
	v_fmac_f32_e32 v95, v84, v108
	ds_read2st64_b32 v[83:84], v103 offset1:30
	v_fma_f32 v98, v11, v108, -v10
	ds_read2st64_b32 v[10:11], v103 offset0:56 offset1:58
	v_fmac_f32_e32 v109, v12, v110
	v_mul_f32_e32 v12, v13, v113
	v_mul_f32_e32 v108, v9, v113
	;; [unrolled: 1-line block ×3, first 2 shown]
	s_waitcnt lgkmcnt(2)
	v_fmac_f32_e32 v111, v15, v118
	v_sub_f32_e32 v8, v67, v8
	v_fma_f32 v12, v9, v112, -v12
	v_mul_f32_e32 v9, v14, v115
	v_fmac_f32_e32 v108, v13, v112
	v_fmac_f32_e32 v110, v14, v114
	v_sub_f32_e32 v12, v69, v12
	v_fma_f32 v6, v6, v114, -v9
	v_mul_f32_e32 v9, v15, v119
	v_lshlrev_b32_sdwa v15, v32, v144 dst_sel:DWORD dst_unused:UNUSED_PAD src0_sel:DWORD src1_sel:BYTE_0
	s_waitcnt vmcnt(2) lgkmcnt(1)
	v_mul_f32_e32 v14, v84, v117
	v_fma_f32 v7, v7, v118, -v9
	v_sub_f32_e32 v6, v68, v6
	s_waitcnt vmcnt(1)
	v_mul_f32_e32 v113, v5, v17
	v_fma_f32 v9, v3, v116, -v14
	v_mul_f32_e32 v3, v3, v117
	v_sub_f32_e32 v7, v19, v7
	s_waitcnt lgkmcnt(0)
	v_fmac_f32_e32 v113, v11, v16
	v_sub_f32_e32 v9, v2, v9
	v_fmac_f32_e32 v3, v84, v116
	v_fma_f32 v2, v2, 2.0, -v9
	v_sub_f32_e32 v3, v83, v3
	v_fma_f32 v83, v83, 2.0, -v3
	s_waitcnt vmcnt(0)
	v_mul_f32_e32 v112, v4, v121
	v_mul_f32_e32 v13, v10, v121
	v_fmac_f32_e32 v112, v10, v120
	v_mov_b32_e32 v10, 0x1e0
	v_fma_f32 v4, v4, v120, -v13
	v_mul_f32_e32 v13, v11, v17
	v_lshlrev_b32_sdwa v11, v32, v82 dst_sel:DWORD dst_unused:UNUSED_PAD src0_sel:DWORD src1_sel:BYTE_0
	v_lshlrev_b32_sdwa v17, v32, v126 dst_sel:DWORD dst_unused:UNUSED_PAD src0_sel:DWORD src1_sel:WORD_0
	v_mul_u32_u24_sdwa v14, v139, v10 dst_sel:DWORD dst_unused:UNUSED_PAD src0_sel:WORD_0 src1_sel:DWORD
	v_mul_u32_u24_sdwa v10, v80, v10 dst_sel:DWORD dst_unused:UNUSED_PAD src0_sel:WORD_0 src1_sel:DWORD
	v_fma_f32 v5, v5, v16, -v13
	v_sub_f32_e32 v13, v79, v148
	v_mul_u32_u24_e32 v16, 0x1e0, v124
	v_add3_u32 v84, 0, v14, v15
	v_mul_u32_u24_e32 v14, 0x1e0, v81
	v_lshlrev_b32_sdwa v15, v32, v122 dst_sel:DWORD dst_unused:UNUSED_PAD src0_sel:DWORD src1_sel:WORD_0
	ds_read_b32 v114, v104
	ds_read_b32 v115, v24
	;; [unrolled: 1-line block ×14, first 2 shown]
	s_waitcnt lgkmcnt(0)
	s_barrier
	buffer_gl0_inv
	ds_write2_b32 v84, v2, v9 offset1:60
	v_add3_u32 v2, 0, v10, v11
	v_sub_f32_e32 v10, v78, v97
	v_add3_u32 v82, 0, v14, v15
	v_mul_u32_u24_e32 v11, 0x1e0, v123
	v_lshlrev_b32_sdwa v14, v32, v125 dst_sel:DWORD dst_unused:UNUSED_PAD src0_sel:DWORD src1_sel:WORD_0
	v_sub_f32_e32 v15, v77, v85
	v_fma_f32 v9, v79, 2.0, -v13
	v_sub_f32_e32 v79, v76, v87
	v_add3_u32 v87, 0, v16, v17
	v_mul_u32_u24_e32 v16, 0x1e0, v127
	v_lshlrev_b32_sdwa v17, v32, v129 dst_sel:DWORD dst_unused:UNUSED_PAD src0_sel:DWORD src1_sel:WORD_0
	v_fma_f32 v78, v78, 2.0, -v10
	v_add3_u32 v85, 0, v11, v14
	v_fma_f32 v11, v77, 2.0, -v15
	v_fma_f32 v14, v76, 2.0, -v79
	ds_write2_b32 v2, v9, v13 offset1:60
	ds_write2_b32 v82, v78, v10 offset1:60
	;; [unrolled: 1-line block ×4, first 2 shown]
	v_add3_u32 v97, 0, v16, v17
	v_sub_f32_e32 v9, v74, v89
	v_mul_u32_u24_e32 v10, 0x1e0, v128
	v_lshlrev_b32_sdwa v11, v32, v131 dst_sel:DWORD dst_unused:UNUSED_PAD src0_sel:DWORD src1_sel:WORD_0
	v_mul_u32_u24_e32 v14, 0x1e0, v130
	v_lshlrev_b32_sdwa v15, v32, v132 dst_sel:DWORD dst_unused:UNUSED_PAD src0_sel:DWORD src1_sel:WORD_0
	v_sub_f32_e32 v16, v73, v96
	v_sub_f32_e32 v13, v75, v91
	v_fma_f32 v17, v74, 2.0, -v9
	v_add3_u32 v89, 0, v10, v11
	v_add3_u32 v91, 0, v14, v15
	v_fma_f32 v11, v73, 2.0, -v16
	v_mul_u32_u24_e32 v14, 0x1e0, v133
	v_lshlrev_b32_sdwa v15, v32, v135 dst_sel:DWORD dst_unused:UNUSED_PAD src0_sel:DWORD src1_sel:WORD_0
	v_sub_f32_e32 v73, v71, v98
	v_fma_f32 v10, v75, 2.0, -v13
	ds_write2_b32 v97, v17, v9 offset1:60
	ds_write2_b32 v89, v10, v13 offset1:60
	;; [unrolled: 1-line block ×3, first 2 shown]
	v_add3_u32 v96, 0, v14, v15
	v_fma_f32 v9, v71, 2.0, -v73
	v_mul_u32_u24_e32 v10, 0x1e0, v134
	v_lshlrev_b32_sdwa v11, v32, v137 dst_sel:DWORD dst_unused:UNUSED_PAD src0_sel:DWORD src1_sel:WORD_0
	v_mul_u32_u24_e32 v13, 0x1e0, v136
	v_lshlrev_b32_sdwa v14, v32, v140 dst_sel:DWORD dst_unused:UNUSED_PAD src0_sel:DWORD src1_sel:WORD_0
	ds_write2_b32 v96, v9, v73 offset1:60
	v_fma_f32 v9, v67, 2.0, -v8
	v_add3_u32 v98, 0, v10, v11
	v_fma_f32 v10, v69, 2.0, -v12
	v_add3_u32 v122, 0, v13, v14
	v_mul_u32_u24_e32 v11, 0x1e0, v138
	v_lshlrev_b32_sdwa v13, v32, v141 dst_sel:DWORD dst_unused:UNUSED_PAD src0_sel:DWORD src1_sel:WORD_0
	v_mul_u32_u24_e32 v14, 0x1e0, v142
	v_lshlrev_b32_sdwa v15, v32, v145 dst_sel:DWORD dst_unused:UNUSED_PAD src0_sel:DWORD src1_sel:WORD_0
	v_sub_f32_e32 v126, v152, v147
	ds_write2_b32 v98, v9, v8 offset1:60
	ds_write2_b32 v122, v10, v12 offset1:60
	v_mul_u32_u24_e32 v9, 0x1e0, v143
	v_lshlrev_b32_sdwa v10, v32, v99 dst_sel:DWORD dst_unused:UNUSED_PAD src0_sel:DWORD src1_sel:WORD_0
	v_sub_f32_e32 v4, v18, v4
	v_add3_u32 v123, 0, v11, v13
	v_mul_u32_u24_e32 v11, 0x1e0, v146
	v_lshlrev_b32_sdwa v12, v32, v149 dst_sel:DWORD dst_unused:UNUSED_PAD src0_sel:DWORD src1_sel:WORD_0
	v_sub_f32_e32 v5, v66, v5
	v_fma_f32 v8, v68, 2.0, -v6
	v_sub_f32_e32 v86, v151, v86
	v_add3_u32 v124, 0, v14, v15
	v_fma_f32 v13, v19, 2.0, -v7
	v_fma_f32 v127, v152, 2.0, -v126
	v_sub_f32_e32 v88, v120, v88
	v_add3_u32 v99, 0, v9, v10
	v_fma_f32 v9, v18, 2.0, -v4
	v_add3_u32 v125, 0, v11, v12
	v_fma_f32 v10, v66, 2.0, -v5
	ds_write2_b32 v123, v8, v6 offset1:60
	ds_write2_b32 v124, v13, v7 offset1:60
	;; [unrolled: 1-line block ×4, first 2 shown]
	s_waitcnt lgkmcnt(0)
	s_barrier
	buffer_gl0_inv
	ds_read_b32 v69, v104
	ds_read_b32 v73, v24
	;; [unrolled: 1-line block ×14, first 2 shown]
	ds_read2st64_b32 v[4:5], v103 offset1:30
	ds_read2st64_b32 v[78:79], v103 offset0:32 offset1:34
	ds_read2st64_b32 v[80:81], v103 offset0:36 offset1:38
	;; [unrolled: 1-line block ×7, first 2 shown]
	s_waitcnt lgkmcnt(0)
	s_barrier
	buffer_gl0_inv
	ds_write2_b32 v84, v83, v3 offset1:60
	ds_write2_b32 v2, v127, v126 offset1:60
	v_sub_f32_e32 v2, v119, v90
	v_fma_f32 v3, v151, 2.0, -v86
	v_sub_f32_e32 v84, v114, v92
	v_fma_f32 v83, v120, 2.0, -v88
	;; [unrolled: 2-line block ×3, first 2 shown]
	ds_write2_b32 v82, v3, v86 offset1:60
	ds_write2_b32 v85, v83, v88 offset1:60
	v_fma_f32 v3, v114, 2.0, -v84
	v_fma_f32 v82, v115, 2.0, -v90
	ds_write2_b32 v87, v92, v2 offset1:60
	v_sub_f32_e32 v2, v116, v93
	ds_write2_b32 v97, v3, v84 offset1:60
	ds_write2_b32 v89, v82, v90 offset1:60
	v_sub_f32_e32 v3, v118, v109
	v_sub_f32_e32 v83, v117, v95
	v_fma_f32 v82, v116, 2.0, -v2
	v_sub_f32_e32 v85, v121, v108
	v_sub_f32_e32 v86, v139, v110
	v_fma_f32 v87, v118, 2.0, -v3
	v_fma_f32 v84, v117, 2.0, -v83
	ds_write2_b32 v91, v82, v2 offset1:60
	ds_write2_b32 v96, v84, v83 offset1:60
	v_fma_f32 v2, v121, 2.0, -v85
	ds_write2_b32 v98, v87, v3 offset1:60
	v_sub_f32_e32 v3, v144, v111
	v_fma_f32 v82, v139, 2.0, -v86
	v_sub_f32_e32 v83, v150, v112
	ds_write2_b32 v122, v2, v85 offset1:60
	ds_write2_b32 v123, v82, v86 offset1:60
	v_mul_lo_u16 v82, 0x78, v70
	v_fma_f32 v84, v144, 2.0, -v3
	v_sub_f32_e32 v2, v153, v113
	v_fma_f32 v85, v150, 2.0, -v83
	v_lshrrev_b32_e32 v128, 22, v22
	v_sub_nc_u16 v122, v38, v82
	ds_write2_b32 v124, v84, v3 offset1:60
	v_mul_lo_u16 v3, 0x78, v72
	v_fma_f32 v86, v153, 2.0, -v2
	ds_write2_b32 v99, v85, v83 offset1:60
	ds_write2_b32 v125, v86, v2 offset1:60
	v_lshlrev_b32_sdwa v2, v33, v122 dst_sel:DWORD dst_unused:UNUSED_PAD src0_sel:DWORD src1_sel:BYTE_0
	v_sub_nc_u16 v123, v40, v3
	s_waitcnt lgkmcnt(0)
	s_barrier
	buffer_gl0_inv
	global_load_dwordx2 v[82:83], v2, s[8:9] offset:880
	v_lshlrev_b32_sdwa v2, v33, v123 dst_sel:DWORD dst_unused:UNUSED_PAD src0_sel:DWORD src1_sel:WORD_0
	v_lshrrev_b32_e32 v124, 22, v21
	v_lshrrev_b32_e32 v125, 22, v20
	;; [unrolled: 1-line block ×4, first 2 shown]
	global_load_dwordx2 v[84:85], v2, s[8:9] offset:880
	v_mul_lo_u16 v2, 0x78, v124
	v_lshrrev_b32_e32 v132, 22, v35
	v_lshrrev_b32_e32 v134, 22, v52
	v_mul_lo_u16 v92, 0x78, v131
	v_lshrrev_b32_e32 v137, 22, v36
	v_sub_nc_u16 v126, v62, v2
	v_mul_lo_u16 v2, 0x78, v125
	v_mul_lo_u16 v93, 0x78, v132
	v_sub_nc_u16 v135, v42, v92
	v_lshrrev_b32_e32 v139, 22, v34
	v_lshlrev_b32_sdwa v3, v33, v126 dst_sel:DWORD dst_unused:UNUSED_PAD src0_sel:DWORD src1_sel:WORD_0
	v_sub_nc_u16 v127, v60, v2
	v_sub_nc_u16 v136, v43, v93
	v_lshlrev_b32_sdwa v94, v33, v135 dst_sel:DWORD dst_unused:UNUSED_PAD src0_sel:DWORD src1_sel:WORD_0
	v_lshrrev_b32_e32 v141, 22, v65
	global_load_dwordx2 v[86:87], v3, s[8:9] offset:880
	v_lshlrev_b32_sdwa v2, v33, v127 dst_sel:DWORD dst_unused:UNUSED_PAD src0_sel:DWORD src1_sel:WORD_0
	v_lshlrev_b32_sdwa v96, v33, v136 dst_sel:DWORD dst_unused:UNUSED_PAD src0_sel:DWORD src1_sel:WORD_0
	v_lshrrev_b32_e32 v142, 22, v64
	v_mul_lo_u16 v108, 0x78, v141
	v_lshrrev_b32_e32 v146, 22, v54
	global_load_dwordx2 v[88:89], v2, s[8:9] offset:880
	v_mul_lo_u16 v3, 0x78, v128
	v_mul_lo_u16 v2, 0x78, v129
	;; [unrolled: 1-line block ×3, first 2 shown]
	v_sub_nc_u16 v144, v51, v108
	v_mul_lo_u16 v115, 0x78, v146
	v_sub_nc_u16 v130, v56, v3
	v_sub_nc_u16 v133, v58, v2
	;; [unrolled: 1-line block ×3, first 2 shown]
	v_lshlrev_b32_sdwa v114, v33, v144 dst_sel:DWORD dst_unused:UNUSED_PAD src0_sel:DWORD src1_sel:WORD_0
	v_sub_nc_u16 v147, v55, v115
	v_lshlrev_b32_sdwa v3, v33, v130 dst_sel:DWORD dst_unused:UNUSED_PAD src0_sel:DWORD src1_sel:WORD_0
	v_lshlrev_b32_sdwa v2, v33, v133 dst_sel:DWORD dst_unused:UNUSED_PAD src0_sel:DWORD src1_sel:WORD_0
	;; [unrolled: 1-line block ×4, first 2 shown]
	s_clause 0x1
	global_load_dwordx2 v[90:91], v3, s[8:9] offset:880
	global_load_dwordx2 v[92:93], v2, s[8:9] offset:880
	v_mul_lo_u16 v3, 0x78, v134
	v_mul_lo_u16 v2, 0x78, v137
	s_clause 0x1
	global_load_dwordx2 v[94:95], v94, s[8:9] offset:880
	global_load_dwordx2 v[96:97], v96, s[8:9] offset:880
	v_sub_nc_u16 v138, v46, v3
	v_sub_nc_u16 v140, v44, v2
	v_mul_lo_u16 v2, 0x78, v139
	v_add_nc_u32_e32 v3, 0xffffff88, v0
	v_lshlrev_b32_sdwa v98, v33, v138 dst_sel:DWORD dst_unused:UNUSED_PAD src0_sel:DWORD src1_sel:WORD_0
	v_lshlrev_b32_sdwa v110, v33, v140 dst_sel:DWORD dst_unused:UNUSED_PAD src0_sel:DWORD src1_sel:WORD_0
	v_sub_nc_u16 v143, v47, v2
	v_cndmask_b32_e64 v2, v3, v0, s0
	v_mov_b32_e32 v3, 0
	global_load_dwordx2 v[98:99], v98, s[8:9] offset:880
	v_lshlrev_b32_sdwa v112, v33, v143 dst_sel:DWORD dst_unused:UNUSED_PAD src0_sel:DWORD src1_sel:WORD_0
	s_clause 0x1
	global_load_dwordx2 v[110:111], v110, s[8:9] offset:880
	global_load_dwordx2 v[112:113], v112, s[8:9] offset:880
	v_lshlrev_b64 v[108:109], 3, v[2:3]
	v_lshlrev_b32_e32 v2, 2, v2
	v_add_co_u32 v108, s0, s8, v108
	v_add_co_ci_u32_e64 v109, s0, s9, v109, s0
	s_clause 0x3
	global_load_dwordx2 v[114:115], v114, s[8:9] offset:880
	global_load_dwordx2 v[116:117], v116, s[8:9] offset:880
	global_load_dwordx2 v[108:109], v[108:109], off offset:880
	global_load_dwordx2 v[118:119], v118, s[8:9] offset:880
	ds_read2st64_b32 v[120:121], v103 offset0:32 offset1:34
	v_cmp_lt_u32_e64 s0, 0x77, v0
	s_waitcnt vmcnt(14) lgkmcnt(0)
	v_mul_f32_e32 v148, v120, v83
	v_mul_f32_e32 v149, v78, v83
	v_fma_f32 v148, v78, v82, -v148
	s_waitcnt vmcnt(13)
	v_mul_f32_e32 v78, v121, v85
	v_fmac_f32_e32 v149, v120, v82
	v_mul_f32_e32 v85, v79, v85
	ds_read2st64_b32 v[82:83], v103 offset0:40 offset1:42
	v_fma_f32 v120, v79, v84, -v78
	ds_read2st64_b32 v[78:79], v103 offset0:36 offset1:38
	v_fmac_f32_e32 v85, v121, v84
	s_waitcnt vmcnt(12) lgkmcnt(0)
	v_mul_f32_e32 v84, v78, v87
	v_mul_f32_e32 v87, v80, v87
	v_fma_f32 v84, v80, v86, -v84
	v_fmac_f32_e32 v87, v78, v86
	s_waitcnt vmcnt(11)
	v_mul_f32_e32 v78, v79, v89
	v_mul_f32_e32 v89, v81, v89
	v_fma_f32 v86, v81, v88, -v78
	ds_read2st64_b32 v[80:81], v103 offset0:44 offset1:46
	v_fmac_f32_e32 v89, v79, v88
	s_waitcnt vmcnt(10)
	v_mul_f32_e32 v78, v82, v91
	v_mul_f32_e32 v88, v14, v91
	v_fma_f32 v91, v14, v90, -v78
	v_fmac_f32_e32 v88, v82, v90
	ds_read2st64_b32 v[78:79], v103 offset0:48 offset1:50
	s_waitcnt vmcnt(9)
	v_mul_f32_e32 v14, v83, v93
	v_mul_f32_e32 v90, v15, v93
	v_fma_f32 v82, v15, v92, -v14
	v_fmac_f32_e32 v90, v83, v92
	s_waitcnt vmcnt(8)
	v_mul_f32_e32 v92, v12, v95
	ds_read2st64_b32 v[14:15], v103 offset0:52 offset1:54
	s_waitcnt lgkmcnt(2)
	v_mul_f32_e32 v83, v80, v95
	s_waitcnt vmcnt(7)
	v_mul_f32_e32 v93, v81, v97
	v_mul_f32_e32 v95, v13, v97
	v_fmac_f32_e32 v92, v80, v94
	v_fma_f32 v83, v12, v94, -v83
	v_fma_f32 v93, v13, v96, -v93
	v_fmac_f32_e32 v95, v81, v96
	ds_read2st64_b32 v[12:13], v103 offset0:56 offset1:58
	ds_read2st64_b32 v[80:81], v103 offset1:30
	s_waitcnt vmcnt(6) lgkmcnt(3)
	v_mul_f32_e32 v94, v78, v99
	v_mul_f32_e32 v96, v10, v99
	s_waitcnt vmcnt(2)
	v_mul_f32_e32 v99, v6, v117
	v_fma_f32 v10, v10, v98, -v94
	v_fmac_f32_e32 v96, v78, v98
	v_mul_f32_e32 v94, v11, v111
	v_mul_f32_e32 v98, v8, v113
	;; [unrolled: 1-line block ×3, first 2 shown]
	s_waitcnt lgkmcnt(2)
	v_mul_f32_e32 v97, v14, v113
	v_sub_f32_e32 v10, v66, v10
	v_fmac_f32_e32 v94, v79, v110
	v_fmac_f32_e32 v98, v14, v112
	v_mul_f32_e32 v14, v15, v115
	v_fma_f32 v11, v11, v110, -v78
	v_fma_f32 v8, v8, v112, -v97
	v_mul_f32_e32 v97, v9, v115
	s_waitcnt lgkmcnt(1)
	v_mul_f32_e32 v78, v12, v117
	s_waitcnt vmcnt(1) lgkmcnt(0)
	v_mul_f32_e32 v79, v81, v109
	v_fma_f32 v9, v9, v114, -v14
	v_fmac_f32_e32 v99, v12, v116
	s_waitcnt vmcnt(0)
	v_mul_f32_e32 v12, v13, v119
	v_fmac_f32_e32 v97, v15, v114
	v_fma_f32 v14, v5, v108, -v79
	v_mul_f32_e32 v110, v7, v119
	v_cndmask_b32_e64 v15, 0, 0x3c0, s0
	v_fma_f32 v7, v7, v118, -v12
	v_mov_b32_e32 v12, 0x3c0
	v_sub_f32_e32 v14, v4, v14
	v_mul_f32_e32 v5, v5, v109
	v_add3_u32 v2, 0, v15, v2
	v_fmac_f32_e32 v110, v13, v118
	v_mul_u32_u24_sdwa v12, v70, v12 dst_sel:DWORD dst_unused:UNUSED_PAD src0_sel:WORD_0 src1_sel:DWORD
	v_fma_f32 v4, v4, 2.0, -v14
	v_mul_u32_u24_e32 v70, 0x3c0, v72
	v_lshlrev_b32_sdwa v72, v32, v123 dst_sel:DWORD dst_unused:UNUSED_PAD src0_sel:DWORD src1_sel:WORD_0
	v_lshlrev_b32_sdwa v13, v32, v122 dst_sel:DWORD dst_unused:UNUSED_PAD src0_sel:DWORD src1_sel:BYTE_0
	v_sub_f32_e32 v15, v77, v148
	v_fma_f32 v6, v6, v116, -v78
	v_fmac_f32_e32 v5, v81, v108
	ds_read_b32 v108, v104
	ds_read_b32 v109, v24
	;; [unrolled: 1-line block ×14, first 2 shown]
	s_waitcnt lgkmcnt(0)
	s_barrier
	buffer_gl0_inv
	ds_write2_b32 v2, v4, v14 offset1:120
	v_add3_u32 v122, 0, v70, v72
	v_mul_u32_u24_e32 v14, 0x3c0, v124
	v_lshlrev_b32_sdwa v70, v32, v126 dst_sel:DWORD dst_unused:UNUSED_PAD src0_sel:DWORD src1_sel:WORD_0
	v_sub_f32_e32 v72, v75, v84
	v_sub_f32_e32 v79, v74, v86
	v_add3_u32 v4, 0, v12, v13
	v_sub_f32_e32 v13, v76, v120
	v_fma_f32 v12, v77, 2.0, -v15
	v_mul_u32_u24_e32 v77, 0x3c0, v125
	v_lshlrev_b32_sdwa v78, v32, v127 dst_sel:DWORD dst_unused:UNUSED_PAD src0_sel:DWORD src1_sel:WORD_0
	v_add3_u32 v84, 0, v14, v70
	v_fma_f32 v14, v75, 2.0, -v72
	v_fma_f32 v70, v74, 2.0, -v79
	v_mul_u32_u24_e32 v74, 0x3c0, v128
	v_lshlrev_b32_sdwa v75, v32, v130 dst_sel:DWORD dst_unused:UNUSED_PAD src0_sel:DWORD src1_sel:WORD_0
	v_fma_f32 v76, v76, 2.0, -v13
	v_add3_u32 v86, 0, v77, v78
	ds_write2_b32 v4, v12, v15 offset1:120
	ds_write2_b32 v122, v76, v13 offset1:120
	;; [unrolled: 1-line block ×4, first 2 shown]
	v_add3_u32 v120, 0, v74, v75
	v_sub_f32_e32 v12, v69, v91
	v_mul_u32_u24_e32 v13, 0x3c0, v129
	v_lshlrev_b32_sdwa v14, v32, v133 dst_sel:DWORD dst_unused:UNUSED_PAD src0_sel:DWORD src1_sel:WORD_0
	v_mul_u32_u24_e32 v70, 0x3c0, v131
	v_lshlrev_b32_sdwa v72, v32, v135 dst_sel:DWORD dst_unused:UNUSED_PAD src0_sel:DWORD src1_sel:WORD_0
	v_sub_f32_e32 v74, v71, v83
	v_sub_f32_e32 v15, v73, v82
	v_fma_f32 v69, v69, 2.0, -v12
	v_add3_u32 v91, 0, v13, v14
	v_add3_u32 v123, 0, v70, v72
	v_fma_f32 v14, v71, 2.0, -v74
	v_mul_u32_u24_e32 v70, 0x3c0, v132
	v_lshlrev_b32_sdwa v71, v32, v136 dst_sel:DWORD dst_unused:UNUSED_PAD src0_sel:DWORD src1_sel:WORD_0
	v_sub_f32_e32 v72, v68, v93
	v_fma_f32 v13, v73, 2.0, -v15
	ds_write2_b32 v120, v69, v12 offset1:120
	ds_write2_b32 v91, v13, v15 offset1:120
	ds_write2_b32 v123, v14, v74 offset1:120
	v_add3_u32 v93, 0, v70, v71
	v_fma_f32 v12, v68, 2.0, -v72
	v_mul_u32_u24_e32 v13, 0x3c0, v134
	v_lshlrev_b32_sdwa v14, v32, v138 dst_sel:DWORD dst_unused:UNUSED_PAD src0_sel:DWORD src1_sel:WORD_0
	v_mul_u32_u24_e32 v15, 0x3c0, v137
	v_lshlrev_b32_sdwa v68, v32, v140 dst_sel:DWORD dst_unused:UNUSED_PAD src0_sel:DWORD src1_sel:WORD_0
	v_sub_f32_e32 v11, v67, v11
	ds_write2_b32 v93, v12, v72 offset1:120
	v_add3_u32 v124, 0, v13, v14
	v_fma_f32 v12, v66, 2.0, -v10
	v_add3_u32 v125, 0, v15, v68
	v_fma_f32 v13, v67, 2.0, -v11
	v_mul_u32_u24_e32 v14, 0x3c0, v139
	v_lshlrev_b32_sdwa v15, v32, v143 dst_sel:DWORD dst_unused:UNUSED_PAD src0_sel:DWORD src1_sel:WORD_0
	v_sub_f32_e32 v8, v19, v8
	v_mul_u32_u24_e32 v66, 0x3c0, v141
	v_lshlrev_b32_sdwa v67, v32, v144 dst_sel:DWORD dst_unused:UNUSED_PAD src0_sel:DWORD src1_sel:WORD_0
	v_sub_f32_e32 v9, v17, v9
	ds_write2_b32 v124, v12, v10 offset1:120
	ds_write2_b32 v125, v13, v11 offset1:120
	v_mul_u32_u24_e32 v11, 0x3c0, v142
	v_lshlrev_b32_sdwa v12, v32, v145 dst_sel:DWORD dst_unused:UNUSED_PAD src0_sel:DWORD src1_sel:WORD_0
	v_sub_f32_e32 v6, v16, v6
	v_add3_u32 v126, 0, v14, v15
	v_mul_u32_u24_e32 v13, 0x3c0, v146
	v_lshlrev_b32_sdwa v14, v32, v147 dst_sel:DWORD dst_unused:UNUSED_PAD src0_sel:DWORD src1_sel:WORD_0
	v_sub_f32_e32 v7, v18, v7
	v_fma_f32 v10, v19, 2.0, -v8
	v_sub_f32_e32 v5, v80, v5
	v_add3_u32 v127, 0, v66, v67
	v_fma_f32 v15, v17, 2.0, -v9
	v_add3_u32 v128, 0, v11, v12
	v_fma_f32 v11, v16, 2.0, -v6
	;; [unrolled: 2-line block ×3, first 2 shown]
	ds_write2_b32 v126, v10, v8 offset1:120
	ds_write2_b32 v127, v15, v9 offset1:120
	;; [unrolled: 1-line block ×4, first 2 shown]
	v_fma_f32 v6, v80, 2.0, -v5
	s_waitcnt lgkmcnt(0)
	s_barrier
	buffer_gl0_inv
	ds_read_b32 v74, v104
	ds_read_b32 v76, v24
	;; [unrolled: 1-line block ×14, first 2 shown]
	ds_read2st64_b32 v[8:9], v103 offset1:30
	ds_read2st64_b32 v[80:81], v103 offset0:32 offset1:34
	ds_read2st64_b32 v[82:83], v103 offset0:36 offset1:38
	;; [unrolled: 1-line block ×7, first 2 shown]
	s_waitcnt lgkmcnt(0)
	s_barrier
	buffer_gl0_inv
	ds_write2_b32 v2, v6, v5 offset1:120
	v_sub_f32_e32 v2, v150, v149
	v_sub_f32_e32 v5, v121, v85
	;; [unrolled: 1-line block ×5, first 2 shown]
	v_fma_f32 v87, v150, 2.0, -v2
	v_fma_f32 v88, v121, 2.0, -v5
	;; [unrolled: 1-line block ×5, first 2 shown]
	ds_write2_b32 v4, v87, v2 offset1:120
	ds_write2_b32 v122, v88, v5 offset1:120
	;; [unrolled: 1-line block ×5, first 2 shown]
	v_sub_f32_e32 v2, v109, v90
	v_sub_f32_e32 v4, v111, v92
	;; [unrolled: 1-line block ×5, first 2 shown]
	v_fma_f32 v84, v109, 2.0, -v2
	v_fma_f32 v85, v111, 2.0, -v4
	;; [unrolled: 1-line block ×5, first 2 shown]
	ds_write2_b32 v91, v84, v2 offset1:120
	ds_write2_b32 v123, v85, v4 offset1:120
	ds_write2_b32 v93, v86, v5 offset1:120
	ds_write2_b32 v124, v87, v6 offset1:120
	ds_write2_b32 v125, v88, v7 offset1:120
	v_add_nc_u32_e32 v2, 0xffffff90, v0
	v_cmp_gt_u32_e64 s0, 0xf0, v38
	v_sub_f32_e32 v6, v117, v98
	v_sub_f32_e32 v7, v118, v97
	;; [unrolled: 1-line block ×4, first 2 shown]
	v_cndmask_b32_e64 v2, v2, v38, s0
	v_fma_f32 v86, v117, 2.0, -v6
	v_fma_f32 v87, v118, 2.0, -v7
	;; [unrolled: 1-line block ×4, first 2 shown]
	v_lshlrev_b64 v[4:5], 3, v[2:3]
	ds_write2_b32 v126, v86, v6 offset1:120
	ds_write2_b32 v127, v87, v7 offset1:120
	;; [unrolled: 1-line block ×4, first 2 shown]
	v_lshrrev_b32_e32 v6, 23, v20
	v_lshrrev_b32_e32 v124, 23, v21
	;; [unrolled: 1-line block ×4, first 2 shown]
	v_add_co_u32 v84, s0, s8, v4
	v_add_co_ci_u32_e64 v85, s0, s9, v5, s0
	v_lshlrev_b64 v[4:5], 3, v[0:1]
	v_mul_lo_u16 v20, 0xf0, v6
	v_mul_lo_u16 v1, 0xf0, v124
	v_mul_lo_u16 v22, 0xf0, v21
	s_waitcnt lgkmcnt(0)
	s_barrier
	v_add_co_u32 v6, s0, s8, v4
	v_add_co_ci_u32_e64 v7, s0, s9, v5, s0
	v_sub_nc_u16 v23, v60, v20
	buffer_gl0_inv
	v_sub_nc_u16 v1, v62, v1
	global_load_dwordx2 v[20:21], v[6:7], off offset:1968
	v_sub_nc_u16 v87, v58, v22
	v_and_b32_e32 v126, 0xffff, v23
	global_load_dwordx2 v[22:23], v[84:85], off offset:1840
	v_lshrrev_b32_e32 v84, 23, v35
	v_mul_lo_u16 v86, 0xf0, v125
	v_lshlrev_b32_sdwa v88, v33, v1 dst_sel:DWORD dst_unused:UNUSED_PAD src0_sel:DWORD src1_sel:WORD_0
	v_and_b32_e32 v128, 0xffff, v87
	v_lshrrev_b32_e32 v129, 23, v37
	v_mul_lo_u16 v91, 0xf0, v84
	v_sub_nc_u16 v127, v56, v86
	v_lshlrev_b32_e32 v86, 3, v126
	v_lshlrev_b32_e32 v90, 3, v128
	v_mul_lo_u16 v87, 0xf0, v129
	v_lshrrev_b32_e32 v130, 23, v52
	global_load_dwordx2 v[84:85], v88, s[8:9] offset:1840
	v_sub_nc_u16 v91, v43, v91
	v_lshrrev_b32_e32 v92, 23, v36
	v_sub_nc_u16 v131, v42, v87
	v_mul_lo_u16 v93, 0xf0, v130
	v_lshlrev_b32_sdwa v89, v33, v127 dst_sel:DWORD dst_unused:UNUSED_PAD src0_sel:DWORD src1_sel:WORD_0
	v_and_b32_e32 v132, 0xffff, v91
	s_clause 0x1
	global_load_dwordx2 v[90:91], v90, s[8:9] offset:1840
	global_load_dwordx2 v[86:87], v86, s[8:9] offset:1840
	v_mul_lo_u16 v92, 0xf0, v92
	v_sub_nc_u16 v133, v46, v93
	v_lshrrev_b32_e32 v93, 23, v65
	v_lshrrev_b32_e32 v134, 23, v34
	global_load_dwordx2 v[88:89], v89, s[8:9] offset:1840
	v_sub_nc_u16 v92, v44, v92
	v_lshlrev_b32_sdwa v94, v33, v131 dst_sel:DWORD dst_unused:UNUSED_PAD src0_sel:DWORD src1_sel:WORD_0
	v_mul_lo_u16 v98, 0xf0, v93
	v_mul_lo_u16 v99, 0xf0, v134
	v_lshrrev_b32_e32 v136, 23, v64
	v_lshlrev_b32_e32 v95, 3, v132
	v_lshlrev_b32_sdwa v96, v33, v133 dst_sel:DWORD dst_unused:UNUSED_PAD src0_sel:DWORD src1_sel:WORD_0
	v_and_b32_e32 v135, 0xffff, v92
	v_sub_nc_u16 v98, v51, v98
	v_sub_nc_u16 v137, v47, v99
	v_lshrrev_b32_e32 v99, 23, v54
	s_clause 0x2
	global_load_dwordx2 v[92:93], v94, s[8:9] offset:1840
	global_load_dwordx2 v[94:95], v95, s[8:9] offset:1840
	;; [unrolled: 1-line block ×3, first 2 shown]
	v_mul_lo_u16 v109, 0xf0, v136
	v_lshlrev_b32_e32 v108, 3, v135
	v_and_b32_e32 v138, 0xffff, v98
	v_lshlrev_b32_sdwa v110, v33, v137 dst_sel:DWORD dst_unused:UNUSED_PAD src0_sel:DWORD src1_sel:WORD_0
	v_mul_lo_u16 v111, 0xf0, v99
	v_sub_nc_u16 v139, v53, v109
	global_load_dwordx2 v[98:99], v108, s[8:9] offset:1840
	v_lshlrev_b32_e32 v112, 3, v138
	global_load_dwordx2 v[108:109], v110, s[8:9] offset:1840
	v_sub_nc_u16 v113, v55, v111
	v_lshlrev_b32_sdwa v114, v33, v139 dst_sel:DWORD dst_unused:UNUSED_PAD src0_sel:DWORD src1_sel:WORD_0
	v_cmp_lt_u32_e64 s0, 0xef, v38
	global_load_dwordx2 v[110:111], v112, s[8:9] offset:1840
	v_lshlrev_b32_e32 v2, 2, v2
	v_and_b32_e32 v140, 0xffff, v113
	s_clause 0x1
	global_load_dwordx2 v[112:113], v[6:7], off offset:1840
	global_load_dwordx2 v[114:115], v114, s[8:9] offset:1840
	v_lshlrev_b32_sdwa v1, v32, v1 dst_sel:DWORD dst_unused:UNUSED_PAD src0_sel:DWORD src1_sel:WORD_0
	v_lshrrev_b32_e32 v35, 24, v35
	v_lshrrev_b32_e32 v52, 24, v52
	v_lshlrev_b32_e32 v116, 3, v140
	v_lshrrev_b32_e32 v64, 24, v64
	v_lshrrev_b32_e32 v54, 24, v54
	v_mul_lo_u16 v35, 0x1e0, v35
	global_load_dwordx2 v[116:117], v116, s[8:9] offset:1840
	ds_read2st64_b32 v[118:119], v103 offset0:32 offset1:34
	ds_read2st64_b32 v[120:121], v103 offset0:36 offset1:38
	;; [unrolled: 1-line block ×3, first 2 shown]
	v_sub_nc_u16 v35, v43, v35
	v_mul_lo_u16 v54, 0x1e0, v54
	v_sub_nc_u16 v54, v55, v54
	v_and_b32_e32 v54, 0xffff, v54
	s_waitcnt vmcnt(13) lgkmcnt(2)
	v_mul_f32_e32 v141, v118, v23
	v_mul_f32_e32 v142, v80, v23
	v_mul_f32_e32 v23, v119, v21
	v_fma_f32 v141, v80, v22, -v141
	v_fmac_f32_e32 v142, v118, v22
	v_mul_f32_e32 v118, v81, v21
	ds_read2st64_b32 v[21:22], v103 offset0:44 offset1:46
	v_fma_f32 v23, v81, v20, -v23
	s_waitcnt vmcnt(12) lgkmcnt(2)
	v_mul_f32_e32 v80, v120, v85
	v_fmac_f32_e32 v118, v119, v20
	v_mul_f32_e32 v143, v82, v85
	v_sub_f32_e32 v23, v66, v23
	v_fma_f32 v119, v82, v84, -v80
	ds_read2st64_b32 v[80:81], v103 offset0:48 offset1:50
	v_fmac_f32_e32 v143, v120, v84
	s_waitcnt vmcnt(10)
	v_mul_f32_e32 v20, v121, v87
	v_mul_f32_e32 v87, v83, v87
	s_waitcnt lgkmcnt(2)
	v_mul_f32_e32 v85, v123, v91
	v_fma_f32 v20, v83, v86, -v20
	ds_read2st64_b32 v[82:83], v103 offset0:52 offset1:54
	v_fmac_f32_e32 v87, v121, v86
	s_waitcnt vmcnt(9)
	v_mul_f32_e32 v84, v122, v89
	v_mul_f32_e32 v86, v18, v89
	;; [unrolled: 1-line block ×3, first 2 shown]
	v_sub_f32_e32 v20, v77, v20
	v_fma_f32 v91, v18, v88, -v84
	v_fmac_f32_e32 v86, v122, v88
	v_fma_f32 v88, v19, v90, -v85
	ds_read2st64_b32 v[18:19], v103 offset1:30
	ds_read2st64_b32 v[84:85], v103 offset0:56 offset1:58
	v_fmac_f32_e32 v89, v123, v90
	s_waitcnt vmcnt(8) lgkmcnt(4)
	v_mul_f32_e32 v90, v21, v93
	v_mul_f32_e32 v93, v16, v93
	s_waitcnt vmcnt(7)
	v_mul_f32_e32 v120, v22, v95
	v_mul_f32_e32 v95, v17, v95
	v_fma_f32 v16, v16, v92, -v90
	v_fmac_f32_e32 v93, v21, v92
	s_waitcnt vmcnt(6) lgkmcnt(3)
	v_mul_f32_e32 v21, v80, v97
	v_fmac_f32_e32 v95, v22, v94
	v_mul_f32_e32 v90, v14, v97
	s_waitcnt vmcnt(5)
	v_mul_f32_e32 v22, v81, v99
	v_fma_f32 v17, v17, v94, -v120
	v_fma_f32 v14, v14, v96, -v21
	s_waitcnt vmcnt(4) lgkmcnt(2)
	v_mul_f32_e32 v21, v82, v109
	v_mul_f32_e32 v92, v15, v99
	v_fma_f32 v15, v15, v98, -v22
	v_mul_f32_e32 v94, v12, v109
	s_waitcnt vmcnt(2) lgkmcnt(1)
	v_mul_f32_e32 v22, v19, v113
	v_fma_f32 v12, v12, v108, -v21
	v_mul_f32_e32 v21, v83, v111
	v_fmac_f32_e32 v90, v80, v96
	v_mul_f32_e32 v96, v13, v111
	v_fmac_f32_e32 v94, v82, v108
	s_waitcnt vmcnt(1) lgkmcnt(0)
	v_mul_f32_e32 v80, v84, v115
	v_fma_f32 v13, v13, v110, -v21
	v_fma_f32 v21, v9, v112, -v22
	v_mul_f32_e32 v9, v9, v113
	s_waitcnt vmcnt(0)
	v_mul_f32_e32 v22, v85, v117
	v_fmac_f32_e32 v96, v83, v110
	v_mul_f32_e32 v82, v10, v115
	v_sub_f32_e32 v21, v8, v21
	v_fmac_f32_e32 v9, v19, v112
	v_cndmask_b32_e64 v19, 0, 0x780, s0
	v_mul_f32_e32 v83, v11, v117
	v_fma_f32 v11, v11, v116, -v22
	v_fma_f32 v8, v8, 2.0, -v21
	v_sub_f32_e32 v22, v79, v141
	v_add3_u32 v2, 0, v19, v2
	v_fma_f32 v19, v66, 2.0, -v23
	v_lshl_add_u32 v66, v0, 2, 0
	v_fmac_f32_e32 v92, v81, v98
	v_fma_f32 v10, v10, v114, -v80
	v_fmac_f32_e32 v82, v84, v114
	v_fmac_f32_e32 v83, v85, v116
	ds_read_b32 v84, v48
	ds_read_b32 v85, v45
	;; [unrolled: 1-line block ×14, first 2 shown]
	s_waitcnt lgkmcnt(0)
	s_barrier
	buffer_gl0_inv
	ds_write2_b32 v103, v8, v21 offset1:240
	v_fma_f32 v8, v79, 2.0, -v22
	v_mul_u32_u24_e32 v21, 0x780, v124
	v_sub_f32_e32 v79, v78, v119
	v_lshl_add_u32 v80, v126, 2, 0
	v_add_nc_u32_e32 v117, 0x7c0, v66
	v_sub_f32_e32 v16, v75, v16
	v_add3_u32 v119, 0, v21, v1
	v_fma_f32 v1, v78, 2.0, -v79
	v_fma_f32 v21, v77, 2.0, -v20
	v_add_nc_u32_e32 v120, 0xf00, v80
	v_mul_u32_u24_e32 v77, 0x780, v125
	v_lshlrev_b32_sdwa v78, v32, v127 dst_sel:DWORD dst_unused:UNUSED_PAD src0_sel:DWORD src1_sel:WORD_0
	ds_write2_b32 v2, v8, v22 offset1:240
	ds_write2_b32 v117, v19, v23 offset1:240
	;; [unrolled: 1-line block ×4, first 2 shown]
	v_mul_u32_u24_e32 v1, 0x780, v129
	v_lshlrev_b32_sdwa v8, v32, v131 dst_sel:DWORD dst_unused:UNUSED_PAD src0_sel:DWORD src1_sel:WORD_0
	v_sub_f32_e32 v19, v74, v91
	v_sub_f32_e32 v20, v76, v88
	v_lshl_add_u32 v21, v128, 2, 0
	v_add3_u32 v121, 0, v77, v78
	v_add3_u32 v88, 0, v1, v8
	v_fma_f32 v1, v74, 2.0, -v19
	v_sub_f32_e32 v17, v73, v17
	v_lshl_add_u32 v22, v132, 2, 0
	v_fma_f32 v8, v76, 2.0, -v20
	v_add_nc_u32_e32 v91, 0x1680, v21
	v_fma_f32 v21, v75, 2.0, -v16
	ds_write2_b32 v121, v1, v19 offset1:240
	ds_write2_b32 v91, v8, v20 offset1:240
	;; [unrolled: 1-line block ×3, first 2 shown]
	v_fma_f32 v1, v73, 2.0, -v17
	v_add_nc_u32_e32 v122, 0x1e00, v22
	v_mul_u32_u24_e32 v8, 0x780, v130
	v_lshlrev_b32_sdwa v16, v32, v133 dst_sel:DWORD dst_unused:UNUSED_PAD src0_sel:DWORD src1_sel:WORD_0
	v_sub_f32_e32 v14, v71, v14
	v_sub_f32_e32 v15, v72, v15
	v_lshl_add_u32 v19, v135, 2, 0
	ds_write2_b32 v122, v1, v17 offset1:240
	v_add3_u32 v123, 0, v8, v16
	v_fma_f32 v1, v71, 2.0, -v14
	v_fma_f32 v8, v72, 2.0, -v15
	v_add_nc_u32_e32 v124, 0x2580, v19
	v_mul_u32_u24_e32 v16, 0x780, v134
	v_lshlrev_b32_sdwa v17, v32, v137 dst_sel:DWORD dst_unused:UNUSED_PAD src0_sel:DWORD src1_sel:WORD_0
	ds_write2_b32 v123, v1, v14 offset1:240
	v_sub_f32_e32 v1, v70, v13
	v_lshl_add_u32 v13, v138, 2, 0
	v_sub_f32_e32 v10, v67, v10
	v_sub_f32_e32 v12, v69, v12
	ds_write2_b32 v124, v8, v15 offset1:240
	v_add3_u32 v125, 0, v16, v17
	v_mul_u32_u24_e32 v15, 0x780, v136
	v_lshlrev_b32_sdwa v16, v32, v139 dst_sel:DWORD dst_unused:UNUSED_PAD src0_sel:DWORD src1_sel:WORD_0
	v_sub_f32_e32 v11, v68, v11
	v_add_nc_u32_e32 v126, 0x2d00, v13
	v_fma_f32 v13, v67, 2.0, -v10
	v_sub_f32_e32 v67, v18, v9
	v_lshl_add_u32 v17, v140, 2, 0
	v_sub_f32_e32 v129, v84, v142
	v_fma_f32 v8, v69, 2.0, -v12
	v_add3_u32 v127, 0, v15, v16
	v_fma_f32 v15, v68, 2.0, -v11
	v_fma_f32 v68, v18, 2.0, -v67
	v_sub_f32_e32 v118, v85, v118
	v_fma_f32 v14, v70, 2.0, -v1
	v_sub_f32_e32 v130, v111, v143
	v_sub_f32_e32 v87, v110, v87
	v_add_nc_u32_e32 v128, 0x3480, v17
	v_fma_f32 v84, v84, 2.0, -v129
	ds_write2_b32 v125, v8, v12 offset1:240
	ds_write2_b32 v126, v14, v1 offset1:240
	ds_write2_b32 v127, v13, v10 offset1:240
	ds_write2_b32 v128, v15, v11 offset1:240
	s_waitcnt lgkmcnt(0)
	s_barrier
	buffer_gl0_inv
	ds_read_b32 v76, v104
	ds_read_b32 v77, v24
	;; [unrolled: 1-line block ×14, first 2 shown]
	ds_read2st64_b32 v[8:9], v103 offset1:30
	ds_read2st64_b32 v[22:23], v103 offset0:32 offset1:34
	ds_read2st64_b32 v[20:21], v103 offset0:36 offset1:38
	;; [unrolled: 1-line block ×7, first 2 shown]
	s_waitcnt lgkmcnt(0)
	s_barrier
	buffer_gl0_inv
	ds_write2_b32 v103, v68, v67 offset1:240
	v_fma_f32 v67, v85, 2.0, -v118
	v_fma_f32 v68, v111, 2.0, -v130
	;; [unrolled: 1-line block ×3, first 2 shown]
	ds_write2_b32 v2, v84, v129 offset1:240
	v_sub_f32_e32 v2, v97, v86
	ds_write2_b32 v117, v67, v118 offset1:240
	ds_write2_b32 v119, v68, v130 offset1:240
	;; [unrolled: 1-line block ×3, first 2 shown]
	v_sub_f32_e32 v67, v98, v89
	v_sub_f32_e32 v84, v99, v93
	;; [unrolled: 1-line block ×3, first 2 shown]
	v_fma_f32 v68, v97, 2.0, -v2
	v_sub_f32_e32 v86, v109, v90
	v_fma_f32 v87, v98, 2.0, -v67
	v_sub_f32_e32 v82, v115, v82
	v_sub_f32_e32 v83, v116, v83
	ds_write2_b32 v121, v68, v2 offset1:240
	v_fma_f32 v2, v99, 2.0, -v84
	v_fma_f32 v68, v108, 2.0, -v85
	;; [unrolled: 1-line block ×3, first 2 shown]
	ds_write2_b32 v91, v87, v67 offset1:240
	v_sub_f32_e32 v67, v112, v92
	ds_write2_b32 v88, v2, v84 offset1:240
	ds_write2_b32 v122, v68, v85 offset1:240
	;; [unrolled: 1-line block ×3, first 2 shown]
	v_sub_f32_e32 v2, v113, v94
	v_sub_f32_e32 v84, v114, v96
	v_fma_f32 v87, v115, 2.0, -v82
	v_fma_f32 v68, v112, 2.0, -v67
	;; [unrolled: 1-line block ×5, first 2 shown]
	v_add_nc_u32_e32 v0, 0xffffffa0, v0
	ds_write2_b32 v124, v68, v67 offset1:240
	v_lshlrev_b64 v[67:68], 3, v[38:39]
	ds_write2_b32 v125, v85, v2 offset1:240
	ds_write2_b32 v126, v86, v84 offset1:240
	;; [unrolled: 1-line block ×4, first 2 shown]
	v_lshlrev_b64 v[82:83], 3, v[40:41]
	v_add_nc_u32_e32 v92, 0x900, v100
	v_and_b32_e32 v120, 0xffff, v35
	v_add_co_u32 v39, s0, s8, v67
	v_add_co_ci_u32_e64 v41, s0, s9, v68, s0
	v_add_co_u32 v67, s0, s8, v82
	v_add_co_ci_u32_e64 v68, s0, s9, v83, s0
	;; [unrolled: 2-line block ×4, first 2 shown]
	v_cmp_gt_u32_e64 s0, 0x1e0, v62
	v_mul_lo_u16 v35, 0x1e0, v52
	v_lshrrev_b32_e32 v99, 24, v36
	v_lshlrev_b32_e32 v52, 3, v120
	s_waitcnt lgkmcnt(0)
	v_cndmask_b32_e64 v2, v0, v62, s0
	v_lshrrev_b32_e32 v0, 24, v37
	v_add_co_u32 v86, s0, 0x800, v6
	v_add_co_ci_u32_e64 v87, s0, 0, v7, s0
	v_lshlrev_b64 v[88:89], 3, v[2:3]
	v_mul_lo_u16 v93, 0x1e0, v0
	v_sub_nc_u16 v98, v46, v35
	s_barrier
	buffer_gl0_inv
	s_clause 0x2
	global_load_dwordx2 v[84:85], v[84:85], off offset:1712
	global_load_dwordx2 v[82:83], v[82:83], off offset:1712
	;; [unrolled: 1-line block ×3, first 2 shown]
	v_add_co_u32 v37, s0, s8, v88
	v_add_co_ci_u32_e64 v89, s0, s9, v89, s0
	v_and_b32_e32 v121, 0xffff, v98
	v_add_co_u32 v88, s0, 0x800, v37
	v_sub_nc_u16 v37, v42, v93
	v_add_co_ci_u32_e64 v89, s0, 0, v89, s0
	v_add_co_u32 v92, s0, s8, v92
	v_add_co_ci_u32_e64 v93, null, s9, 0, s0
	v_lshlrev_b32_sdwa v94, v33, v37 dst_sel:DWORD dst_unused:UNUSED_PAD src0_sel:DWORD src1_sel:WORD_0
	v_add_co_u32 v92, s0, 0x800, v92
	v_add_co_ci_u32_e64 v93, s0, 0, v93, s0
	v_add_co_u32 v96, s0, s8, v94
	v_add_co_ci_u32_e64 v97, null, s9, 0, s0
	v_add_co_u32 v94, s0, 0x1000, v6
	v_add_co_ci_u32_e64 v95, s0, 0, v7, s0
	v_add_co_u32 v96, s0, 0x800, v96
	v_add_co_ci_u32_e64 v97, s0, 0, v97, s0
	s_clause 0x3
	global_load_dwordx2 v[35:36], v[88:89], off offset:1712
	global_load_dwordx2 v[88:89], v[94:95], off offset:944
	;; [unrolled: 1-line block ×4, first 2 shown]
	v_mul_lo_u16 v96, 0x1e0, v99
	v_add_co_u32 v52, s0, s8, v52
	v_add_co_ci_u32_e64 v97, null, s9, 0, s0
	v_sub_nc_u16 v99, v44, v96
	v_lshlrev_b32_e32 v98, 3, v121
	v_lshrrev_b32_e32 v122, 24, v34
	v_add_co_u32 v96, s0, 0x800, v52
	v_and_b32_e32 v52, 0xffff, v99
	v_add_co_ci_u32_e64 v97, s0, 0, v97, s0
	v_add_co_u32 v34, s0, s8, v98
	v_mul_lo_u16 v109, 0x1e0, v122
	v_add_co_ci_u32_e64 v99, null, s9, 0, s0
	v_lshlrev_b32_e32 v108, 3, v52
	v_add_co_u32 v98, s0, 0x800, v34
	v_lshrrev_b32_e32 v34, 24, v65
	v_sub_nc_u16 v123, v47, v109
	v_add_co_ci_u32_e64 v99, s0, 0, v99, s0
	v_add_co_u32 v65, s0, s8, v108
	v_add_co_ci_u32_e64 v108, null, s9, 0, s0
	v_mul_lo_u16 v110, 0x1e0, v34
	v_lshlrev_b32_sdwa v109, v33, v123 dst_sel:DWORD dst_unused:UNUSED_PAD src0_sel:DWORD src1_sel:WORD_0
	v_add_co_u32 v33, s0, 0x800, v65
	v_add_co_ci_u32_e64 v34, s0, 0, v108, s0
	v_sub_nc_u16 v65, v51, v110
	v_add_co_u32 v108, s0, s8, v109
	v_add_co_ci_u32_e64 v109, null, s9, 0, s0
	v_mul_lo_u16 v110, 0x1e0, v64
	v_and_b32_e32 v124, 0xffff, v65
	v_add_co_u32 v64, s0, 0x800, v108
	v_add_co_ci_u32_e64 v65, s0, 0, v109, s0
	v_sub_nc_u16 v109, v53, v110
	v_lshlrev_b32_e32 v108, 3, v124
	v_lshlrev_b32_e32 v112, 3, v54
	s_clause 0x3
	global_load_dwordx2 v[96:97], v[96:97], off offset:1712
	global_load_dwordx2 v[98:99], v[98:99], off offset:1712
	;; [unrolled: 1-line block ×4, first 2 shown]
	v_lshlrev_b32_e32 v2, 2, v2
	v_and_b32_e32 v125, 0xffff, v109
	v_add_co_u32 v108, s0, s8, v108
	v_add_co_ci_u32_e64 v109, null, s9, 0, s0
	v_lshlrev_b32_e32 v110, 3, v125
	v_add_co_u32 v108, s0, 0x800, v108
	v_add_co_ci_u32_e64 v109, s0, 0, v109, s0
	v_add_co_u32 v110, s0, s8, v110
	v_add_co_ci_u32_e64 v111, null, s9, 0, s0
	v_mul_u32_u24_e32 v0, 0xf00, v0
	v_add_co_u32 v110, s0, 0x800, v110
	v_add_co_ci_u32_e64 v111, s0, 0, v111, s0
	v_add_co_u32 v112, s0, s8, v112
	v_add_co_ci_u32_e64 v113, null, s9, 0, s0
	s_clause 0x2
	global_load_dwordx2 v[108:109], v[108:109], off offset:1712
	global_load_dwordx2 v[110:111], v[110:111], off offset:1712
	;; [unrolled: 1-line block ×3, first 2 shown]
	v_add_co_u32 v112, s0, 0x800, v112
	v_add_co_ci_u32_e64 v113, s0, 0, v113, s0
	v_cmp_lt_u32_e64 s0, 0x1df, v62
	v_lshl_add_u32 v54, v54, 2, 0
	v_lshlrev_b64 v[62:63], 3, v[62:63]
	global_load_dwordx2 v[112:113], v[112:113], off offset:1712
	ds_read2st64_b32 v[114:115], v103 offset0:32 offset1:34
	ds_read2st64_b32 v[116:117], v103 offset0:36 offset1:38
	;; [unrolled: 1-line block ×3, first 2 shown]
	s_waitcnt vmcnt(13) lgkmcnt(2)
	v_mul_f32_e32 v126, v114, v83
	v_mul_f32_e32 v127, v22, v83
	;; [unrolled: 1-line block ×4, first 2 shown]
	v_fma_f32 v126, v22, v82, -v126
	v_fmac_f32_e32 v127, v114, v82
	v_fma_f32 v114, v23, v84, -v83
	ds_read2st64_b32 v[82:83], v103 offset0:44 offset1:46
	s_waitcnt vmcnt(12) lgkmcnt(2)
	v_mul_f32_e32 v23, v117, v91
	v_mul_f32_e32 v91, v21, v91
	v_fmac_f32_e32 v85, v115, v84
	v_fma_f32 v115, v21, v90, -v23
	v_fmac_f32_e32 v91, v117, v90
	s_waitcnt vmcnt(11)
	v_mul_f32_e32 v22, v116, v36
	v_mul_f32_e32 v128, v20, v36
	s_waitcnt vmcnt(9) lgkmcnt(1)
	v_mul_f32_e32 v36, v119, v93
	v_mul_f32_e32 v90, v19, v93
	v_fma_f32 v84, v20, v35, -v22
	v_fmac_f32_e32 v128, v116, v35
	ds_read2st64_b32 v[20:21], v103 offset0:48 offset1:50
	v_mul_f32_e32 v35, v118, v89
	v_mul_f32_e32 v89, v18, v89
	ds_read2st64_b32 v[22:23], v103 offset0:52 offset1:54
	s_waitcnt vmcnt(8) lgkmcnt(2)
	v_mul_f32_e32 v116, v82, v95
	v_mul_f32_e32 v95, v16, v95
	v_fma_f32 v93, v18, v88, -v35
	v_fmac_f32_e32 v89, v118, v88
	v_fma_f32 v88, v19, v92, -v36
	ds_read2st64_b32 v[18:19], v103 offset0:56 offset1:58
	ds_read2st64_b32 v[35:36], v103 offset1:30
	v_fmac_f32_e32 v90, v119, v92
	v_fma_f32 v16, v16, v94, -v116
	v_fmac_f32_e32 v95, v82, v94
	v_sub_f32_e32 v16, v74, v16
	s_waitcnt vmcnt(7)
	v_mul_f32_e32 v117, v83, v97
	v_mul_f32_e32 v97, v17, v97
	s_waitcnt vmcnt(5) lgkmcnt(3)
	v_mul_f32_e32 v92, v21, v34
	v_mul_f32_e32 v94, v15, v34
	s_waitcnt vmcnt(4) lgkmcnt(2)
	v_mul_f32_e32 v34, v22, v65
	v_mul_f32_e32 v82, v20, v99
	v_fmac_f32_e32 v97, v83, v96
	v_mul_f32_e32 v83, v14, v99
	v_fma_f32 v15, v15, v33, -v92
	v_fmac_f32_e32 v94, v21, v33
	v_mul_f32_e32 v33, v12, v65
	v_fma_f32 v14, v14, v98, -v82
	v_fmac_f32_e32 v83, v20, v98
	v_fma_f32 v20, v12, v64, -v34
	v_fma_f32 v17, v17, v96, -v117
	v_fmac_f32_e32 v33, v22, v64
	v_sub_f32_e32 v17, v75, v17
	s_waitcnt vmcnt(3)
	v_mul_f32_e32 v12, v23, v109
	s_waitcnt vmcnt(2) lgkmcnt(1)
	v_mul_f32_e32 v21, v18, v111
	s_waitcnt vmcnt(1) lgkmcnt(0)
	v_mul_f32_e32 v34, v36, v87
	v_mul_f32_e32 v82, v13, v109
	;; [unrolled: 1-line block ×3, first 2 shown]
	v_fma_f32 v12, v13, v108, -v12
	v_fma_f32 v13, v10, v110, -v21
	;; [unrolled: 1-line block ×3, first 2 shown]
	v_fmac_f32_e32 v82, v23, v108
	v_mul_f32_e32 v9, v9, v87
	s_waitcnt vmcnt(0)
	v_mul_f32_e32 v10, v19, v113
	v_mul_f32_e32 v23, v11, v113
	v_sub_f32_e32 v21, v8, v21
	v_fmac_f32_e32 v22, v18, v110
	v_sub_f32_e32 v18, v80, v114
	v_fma_f32 v10, v11, v112, -v10
	v_sub_f32_e32 v11, v81, v126
	v_fma_f32 v8, v8, 2.0, -v21
	v_fmac_f32_e32 v23, v19, v112
	v_fmac_f32_e32 v9, v36, v86
	ds_read_b32 v86, v104
	ds_read_b32 v87, v24
	;; [unrolled: 1-line block ×11, first 2 shown]
	v_fma_f32 v19, v81, 2.0, -v11
	ds_read_b32 v113, v45
	ds_read_b32 v116, v48
	;; [unrolled: 1-line block ×3, first 2 shown]
	s_waitcnt lgkmcnt(0)
	s_barrier
	buffer_gl0_inv
	ds_write_b32 v103, v8
	ds_write_b32 v103, v21 offset:1920
	v_fma_f32 v8, v80, 2.0, -v18
	ds_write_b32 v48, v19
	ds_write_b32 v48, v11 offset:1920
	v_cndmask_b32_e64 v11, 0, 0xf00, s0
	v_sub_f32_e32 v19, v78, v115
	v_sub_f32_e32 v21, v76, v93
	ds_write_b32 v45, v8
	v_sub_f32_e32 v8, v79, v84
	v_add3_u32 v2, 0, v11, v2
	v_sub_f32_e32 v11, v77, v88
	v_fma_f32 v36, v78, 2.0, -v19
	v_fma_f32 v64, v76, 2.0, -v21
	;; [unrolled: 1-line block ×3, first 2 shown]
	v_add_nc_u32_e32 v78, 0x80, v66
	v_fma_f32 v65, v77, 2.0, -v11
	v_add_nc_u32_e32 v77, 0x1380, v66
	ds_write_b32 v45, v18 offset:1920
	ds_write_b32 v2, v34
	ds_write_b32 v2, v8 offset:1920
	ds_write2st64_b32 v78, v36, v64 offset0:15 offset1:17
	ds_write2_b32 v77, v65, v19 offset1:224
	v_lshlrev_b32_sdwa v8, v32, v37 dst_sel:DWORD dst_unused:UNUSED_PAD src0_sel:DWORD src1_sel:WORD_0
	v_sub_f32_e32 v79, v35, v9
	v_sub_f32_e32 v9, v73, v14
	v_lshl_add_u32 v81, v120, 2, 0
	ds_write2st64_b32 v66, v21, v11 offset0:25 offset1:27
	v_add3_u32 v80, 0, v0, v8
	v_fma_f32 v0, v74, 2.0, -v16
	v_fma_f32 v8, v75, 2.0, -v17
	ds_write_b32 v80, v0
	ds_write_b32 v80, v16 offset:1920
	ds_write_b32 v81, v8 offset:7680
	;; [unrolled: 1-line block ×3, first 2 shown]
	v_sub_f32_e32 v8, v72, v15
	v_fma_f32 v0, v73, 2.0, -v9
	v_lshl_add_u32 v88, v121, 2, 0
	v_lshlrev_b32_sdwa v11, v32, v123 dst_sel:DWORD dst_unused:UNUSED_PAD src0_sel:DWORD src1_sel:WORD_0
	v_mul_u32_u24_e32 v14, 0xf00, v122
	v_sub_f32_e32 v15, v71, v20
	v_fma_f32 v16, v72, 2.0, -v8
	v_lshl_add_u32 v32, v52, 2, 0
	ds_write_b32 v88, v0 offset:7680
	v_add3_u32 v52, 0, v14, v11
	v_fma_f32 v0, v71, 2.0, -v15
	ds_write_b32 v88, v9 offset:9600
	ds_write_b32 v32, v16 offset:7680
	ds_write_b32 v32, v8 offset:9600
	v_sub_f32_e32 v8, v69, v12
	v_sub_f32_e32 v115, v116, v127
	;; [unrolled: 1-line block ×3, first 2 shown]
	ds_write_b32 v52, v0
	v_sub_f32_e32 v0, v1, v13
	v_fma_f32 v84, v35, 2.0, -v79
	v_fma_f32 v10, v69, 2.0, -v8
	v_lshl_add_u32 v93, v124, 2, 0
	v_sub_f32_e32 v85, v113, v85
	v_fma_f32 v1, v1, 2.0, -v0
	v_lshl_add_u32 v114, v125, 2, 0
	v_fma_f32 v116, v116, 2.0, -v115
	v_fma_f32 v11, v70, 2.0, -v9
	ds_write_b32 v52, v15 offset:1920
	ds_write_b32 v93, v10 offset:11520
	;; [unrolled: 1-line block ×7, first 2 shown]
	s_waitcnt lgkmcnt(0)
	s_barrier
	buffer_gl0_inv
	ds_read_b32 v17, v104
	ds_read_b32 v14, v24
	;; [unrolled: 1-line block ×14, first 2 shown]
	ds_read2st64_b32 v[0:1], v103 offset1:30
	ds_read2st64_b32 v[34:35], v103 offset0:32 offset1:34
	ds_read2st64_b32 v[36:37], v103 offset0:36 offset1:38
	;; [unrolled: 1-line block ×7, first 2 shown]
	s_waitcnt lgkmcnt(0)
	s_barrier
	buffer_gl0_inv
	ds_write_b32 v103, v84
	v_fma_f32 v84, v113, 2.0, -v85
	ds_write_b32 v103, v79 offset:1920
	ds_write_b32 v48, v116
	v_sub_f32_e32 v79, v108, v128
	ds_write_b32 v48, v115 offset:1920
	ds_write_b32 v45, v84
	v_sub_f32_e32 v84, v99, v91
	v_sub_f32_e32 v89, v86, v89
	v_fma_f32 v91, v108, 2.0, -v79
	v_sub_f32_e32 v90, v87, v90
	ds_write_b32 v45, v85 offset:1920
	v_fma_f32 v85, v99, 2.0, -v84
	v_fma_f32 v86, v86, 2.0, -v89
	ds_write_b32 v2, v91
	v_fma_f32 v87, v87, 2.0, -v90
	v_sub_f32_e32 v91, v92, v95
	ds_write_b32 v2, v79 offset:1920
	ds_write2st64_b32 v78, v85, v86 offset0:15 offset1:17
	v_sub_f32_e32 v2, v96, v97
	v_sub_f32_e32 v78, v98, v83
	ds_write2_b32 v77, v87, v84 offset1:224
	v_fma_f32 v77, v92, 2.0, -v91
	v_sub_f32_e32 v83, v109, v94
	v_fma_f32 v79, v96, 2.0, -v2
	ds_write2st64_b32 v66, v89, v90 offset0:25 offset1:27
	ds_write_b32 v80, v77
	ds_write_b32 v80, v91 offset:1920
	v_fma_f32 v77, v98, 2.0, -v78
	ds_write_b32 v81, v2 offset:9600
	v_sub_f32_e32 v2, v110, v33
	ds_write_b32 v81, v79 offset:7680
	v_fma_f32 v79, v109, 2.0, -v83
	v_sub_f32_e32 v33, v111, v82
	ds_write_b32 v88, v77 offset:7680
	ds_write_b32 v88, v78 offset:9600
	;; [unrolled: 1-line block ×3, first 2 shown]
	v_fma_f32 v77, v110, 2.0, -v2
	v_sub_f32_e32 v22, v112, v22
	ds_write_b32 v32, v83 offset:9600
	v_sub_f32_e32 v32, v117, v23
	v_fma_f32 v23, v111, 2.0, -v33
	ds_write_b32 v52, v77
	v_fma_f32 v77, v112, 2.0, -v22
	ds_write_b32 v52, v2 offset:1920
	v_fma_f32 v2, v117, 2.0, -v32
	ds_write_b32 v93, v23 offset:11520
	ds_write_b32 v93, v33 offset:13440
	ds_write_b32 v114, v77 offset:11520
	ds_write_b32 v114, v22 offset:13440
	ds_write_b32 v54, v2 offset:11520
	v_add_co_u32 v22, s0, 0x1800, v39
	v_add_co_ci_u32_e64 v23, s0, 0, v41, s0
	ds_write_b32 v54, v32 offset:13440
	v_add_co_u32 v32, s0, 0x1800, v67
	v_add_co_ci_u32_e64 v33, s0, 0, v68, s0
	v_add_co_u32 v77, s0, 0x1800, v6
	v_add_co_ci_u32_e64 v78, s0, 0, v7, s0
	s_waitcnt lgkmcnt(0)
	s_barrier
	buffer_gl0_inv
	s_clause 0x2
	global_load_dwordx2 v[79:80], v[32:33], off offset:1456
	global_load_dwordx2 v[81:82], v[22:23], off offset:1456
	;; [unrolled: 1-line block ×3, first 2 shown]
	v_lshlrev_b64 v[32:33], 3, v[60:61]
	v_add_co_u32 v22, s0, s8, v62
	v_lshlrev_b64 v[60:61], 3, v[56:57]
	v_add_co_ci_u32_e64 v23, s0, s9, v63, s0
	v_add_co_u32 v32, s0, s8, v32
	v_lshlrev_b64 v[62:63], 3, v[58:59]
	v_add_co_ci_u32_e64 v33, s0, s9, v33, s0
	v_add_co_u32 v57, s0, s8, v60
	v_add_co_ci_u32_e64 v58, s0, s9, v61, s0
	v_add_co_u32 v62, s0, s8, v62
	;; [unrolled: 2-line block ×5, first 2 shown]
	v_add_co_ci_u32_e64 v88, s0, 0, v58, s0
	v_add_nc_u32_e32 v2, 0xfffffc40, v42
	v_cmp_gt_u32_e64 s0, 0x3c0, v42
	v_add_nc_u32_e32 v56, 0xa00, v100
	v_cndmask_b32_e64 v2, v2, v42, s0
	v_add_co_u32 v89, s0, 0x1800, v62
	v_add_co_ci_u32_e64 v90, s0, 0, v63, s0
	v_lshlrev_b64 v[91:92], 3, v[2:3]
	s_clause 0x3
	global_load_dwordx2 v[59:60], v[59:60], off offset:1456
	global_load_dwordx2 v[85:86], v[85:86], off offset:1456
	;; [unrolled: 1-line block ×4, first 2 shown]
	v_lshlrev_b32_e32 v2, 2, v2
	v_add_co_u32 v52, s0, s8, v91
	v_add_co_ci_u32_e64 v54, s0, s9, v92, s0
	v_add_co_u32 v91, s0, 0x1800, v52
	v_add_co_ci_u32_e64 v92, s0, 0, v54, s0
	v_add_co_u32 v52, s0, s8, v56
	v_add_co_ci_u32_e64 v54, null, s9, 0, s0
	v_add_nc_u32_e32 v56, 0xe00, v100
	v_add_co_u32 v93, s0, 0x1800, v52
	v_add_co_ci_u32_e64 v94, s0, 0, v54, s0
	v_add_co_u32 v52, s0, s8, v56
	v_add_co_ci_u32_e64 v54, null, s9, 0, s0
	v_add_co_u32 v95, s0, 0x2000, v6
	v_add_co_ci_u32_e64 v96, s0, 0, v7, s0
	v_add_co_u32 v97, s0, 0x1800, v52
	v_add_nc_u32_e32 v52, 0x1200, v100
	v_add_co_ci_u32_e64 v98, s0, 0, v54, s0
	v_add_nc_u32_e32 v56, 0x1600, v100
	s_clause 0x3
	global_load_dwordx2 v[91:92], v[91:92], off offset:1456
	global_load_dwordx2 v[95:96], v[95:96], off offset:944
	;; [unrolled: 1-line block ×4, first 2 shown]
	v_add_co_u32 v52, s0, s8, v52
	v_add_co_ci_u32_e64 v54, null, s9, 0, s0
	v_add_co_u32 v108, s0, 0x1800, v52
	v_add_co_ci_u32_e64 v109, s0, 0, v54, s0
	v_add_co_u32 v52, s0, s8, v56
	v_add_co_ci_u32_e64 v54, null, s9, 0, s0
	v_add_nc_u32_e32 v56, 0x1a00, v100
	v_add_co_u32 v110, s0, 0x1800, v52
	v_add_co_ci_u32_e64 v111, s0, 0, v54, s0
	v_add_co_u32 v52, s0, s8, v56
	v_add_co_ci_u32_e64 v54, null, s9, 0, s0
	s_clause 0x2
	global_load_dwordx2 v[108:109], v[108:109], off offset:1456
	global_load_dwordx2 v[110:111], v[110:111], off offset:1456
	;; [unrolled: 1-line block ×3, first 2 shown]
	v_add_co_u32 v112, s0, 0x1800, v52
	v_add_co_ci_u32_e64 v113, s0, 0, v54, s0
	v_cmp_lt_u32_e64 s0, 0x3bf, v42
	global_load_dwordx2 v[112:113], v[112:113], off offset:1456
	ds_read2st64_b32 v[114:115], v103 offset0:32 offset1:34
	ds_read2st64_b32 v[116:117], v103 offset0:36 offset1:38
	;; [unrolled: 1-line block ×3, first 2 shown]
	s_waitcnt vmcnt(14)
	v_mul_f32_e32 v56, v35, v80
	s_waitcnt vmcnt(13) lgkmcnt(2)
	v_mul_f32_e32 v52, v114, v82
	v_mul_f32_e32 v54, v34, v82
	v_fmac_f32_e32 v56, v115, v79
	v_fma_f32 v52, v34, v81, -v52
	v_fmac_f32_e32 v54, v114, v81
	v_mul_f32_e32 v34, v115, v80
	ds_read2st64_b32 v[80:81], v103 offset0:44 offset1:46
	v_sub_f32_e32 v52, v21, v52
	v_fma_f32 v99, v35, v79, -v34
	ds_read2st64_b32 v[34:35], v103 offset0:48 offset1:50
	v_fma_f32 v21, v21, 2.0, -v52
	s_waitcnt vmcnt(12) lgkmcnt(1)
	v_mul_f32_e32 v115, v81, v84
	v_mul_f32_e32 v84, v70, v84
	v_fma_f32 v70, v70, v83, -v115
	v_fmac_f32_e32 v84, v81, v83
	s_waitcnt vmcnt(11)
	v_mul_f32_e32 v61, v116, v60
	v_mul_f32_e32 v82, v36, v60
	s_waitcnt vmcnt(10)
	v_mul_f32_e32 v60, v117, v86
	v_mul_f32_e32 v86, v37, v86
	v_fma_f32 v61, v36, v59, -v61
	v_fmac_f32_e32 v82, v116, v59
	v_fma_f32 v79, v37, v85, -v60
	s_waitcnt vmcnt(9)
	v_mul_f32_e32 v59, v118, v88
	v_mul_f32_e32 v88, v64, v88
	s_waitcnt vmcnt(8)
	v_mul_f32_e32 v60, v119, v90
	ds_read2st64_b32 v[36:37], v103 offset0:52 offset1:54
	v_fmac_f32_e32 v86, v117, v85
	v_fma_f32 v85, v64, v87, -v59
	v_fmac_f32_e32 v88, v118, v87
	v_fma_f32 v87, v65, v89, -v60
	v_mul_f32_e32 v90, v65, v90
	ds_read2st64_b32 v[59:60], v103 offset0:56 offset1:58
	ds_read2st64_b32 v[64:65], v103 offset1:30
	v_sub_f32_e32 v61, v19, v61
	v_fmac_f32_e32 v90, v119, v89
	v_fma_f32 v19, v19, 2.0, -v61
	s_waitcnt vmcnt(7)
	v_mul_f32_e32 v114, v80, v92
	v_mul_f32_e32 v92, v69, v92
	s_waitcnt vmcnt(6)
	v_mul_f32_e32 v81, v71, v96
	s_waitcnt vmcnt(5) lgkmcnt(3)
	v_mul_f32_e32 v83, v35, v94
	v_mul_f32_e32 v89, v72, v94
	v_fma_f32 v69, v69, v91, -v114
	v_fmac_f32_e32 v92, v80, v91
	s_waitcnt vmcnt(4) lgkmcnt(2)
	v_mul_f32_e32 v91, v36, v98
	v_mul_f32_e32 v80, v34, v96
	v_fmac_f32_e32 v81, v34, v95
	v_fma_f32 v34, v72, v93, -v83
	v_fmac_f32_e32 v89, v35, v93
	v_fma_f32 v35, v73, v97, -v91
	v_mul_f32_e32 v73, v73, v98
	v_fma_f32 v71, v71, v95, -v80
	v_fmac_f32_e32 v73, v36, v97
	s_waitcnt vmcnt(3)
	v_mul_f32_e32 v72, v37, v109
	v_mul_f32_e32 v80, v74, v109
	s_waitcnt vmcnt(1) lgkmcnt(0)
	v_mul_f32_e32 v91, v65, v78
	v_mul_f32_e32 v83, v59, v111
	v_fma_f32 v36, v74, v108, -v72
	v_fmac_f32_e32 v80, v37, v108
	v_fma_f32 v72, v1, v77, -v91
	v_fma_f32 v37, v75, v110, -v83
	v_mul_f32_e32 v1, v1, v78
	s_waitcnt vmcnt(0)
	v_mul_f32_e32 v83, v76, v113
	v_mul_f32_e32 v74, v75, v111
	v_sub_f32_e32 v72, v0, v72
	v_mul_f32_e32 v75, v60, v113
	v_fmac_f32_e32 v1, v65, v77
	v_fmac_f32_e32 v83, v60, v112
	v_sub_f32_e32 v60, v20, v99
	v_fma_f32 v0, v0, 2.0, -v72
	v_sub_f32_e32 v65, v18, v79
	v_fmac_f32_e32 v74, v59, v110
	v_fma_f32 v59, v76, v112, -v75
	ds_read_b32 v75, v104
	ds_read_b32 v76, v24
	;; [unrolled: 1-line block ×14, first 2 shown]
	s_waitcnt lgkmcnt(0)
	s_barrier
	buffer_gl0_inv
	ds_write2st64_b32 v103, v0, v72 offset1:15
	v_fma_f32 v0, v20, 2.0, -v60
	v_sub_f32_e32 v20, v17, v85
	v_fma_f32 v18, v18, 2.0, -v65
	ds_write2st64_b32 v48, v21, v52 offset1:15
	ds_write2st64_b32 v45, v0, v60 offset1:15
	;; [unrolled: 1-line block ×4, first 2 shown]
	v_cndmask_b32_e64 v18, 0, 0x1e00, s0
	v_fma_f32 v0, v17, 2.0, -v20
	v_sub_f32_e32 v17, v14, v87
	v_sub_f32_e32 v19, v13, v69
	;; [unrolled: 1-line block ×4, first 2 shown]
	v_add3_u32 v79, 0, v18, v2
	v_fma_f32 v14, v14, 2.0, -v17
	v_fma_f32 v2, v13, 2.0, -v19
	;; [unrolled: 1-line block ×4, first 2 shown]
	v_sub_f32_e32 v16, v12, v34
	ds_write2st64_b32 v104, v0, v20 offset1:15
	ds_write2st64_b32 v24, v14, v17 offset1:15
	;; [unrolled: 1-line block ×3, first 2 shown]
	ds_write2st64_b32 v66, v13, v15 offset0:31 offset1:33
	ds_write2st64_b32 v66, v52, v16 offset0:48 offset1:50
	v_sub_f32_e32 v0, v8, v35
	v_sub_f32_e32 v14, v11, v59
	;; [unrolled: 1-line block ×4, first 2 shown]
	v_fma_f32 v12, v12, 2.0, -v16
	v_fma_f32 v8, v8, 2.0, -v0
	v_sub_f32_e32 v52, v64, v1
	v_fma_f32 v1, v11, 2.0, -v14
	v_fma_f32 v9, v9, 2.0, -v2
	;; [unrolled: 1-line block ×3, first 2 shown]
	ds_write2st64_b32 v66, v12, v8 offset0:35 offset1:37
	ds_write2st64_b32 v66, v0, v2 offset0:52 offset1:54
	;; [unrolled: 1-line block ×3, first 2 shown]
	v_fma_f32 v85, v64, 2.0, -v52
	ds_write2st64_b32 v66, v1, v21 offset0:43 offset1:46
	ds_write2st64_b32 v66, v13, v14 offset0:56 offset1:58
	s_waitcnt lgkmcnt(0)
	s_barrier
	buffer_gl0_inv
	ds_read_b32 v64, v104
	ds_read_b32 v69, v24
	;; [unrolled: 1-line block ×14, first 2 shown]
	ds_read2st64_b32 v[14:15], v103 offset1:30
	ds_read2st64_b32 v[16:17], v103 offset0:32 offset1:34
	ds_read2st64_b32 v[18:19], v103 offset0:36 offset1:38
	;; [unrolled: 1-line block ×7, first 2 shown]
	v_sub_f32_e32 v54, v109, v54
	v_sub_f32_e32 v56, v108, v56
	;; [unrolled: 1-line block ×4, first 2 shown]
	s_waitcnt lgkmcnt(0)
	v_fma_f32 v87, v109, 2.0, -v54
	v_fma_f32 v99, v108, 2.0, -v56
	;; [unrolled: 1-line block ×3, first 2 shown]
	s_barrier
	buffer_gl0_inv
	ds_write2st64_b32 v103, v85, v52 offset1:15
	ds_write2st64_b32 v48, v87, v54 offset1:15
	;; [unrolled: 1-line block ×4, first 2 shown]
	v_sub_f32_e32 v48, v75, v88
	v_sub_f32_e32 v52, v76, v90
	;; [unrolled: 1-line block ×5, first 2 shown]
	v_fma_f32 v45, v93, 2.0, -v86
	v_fma_f32 v75, v75, 2.0, -v48
	;; [unrolled: 1-line block ×6, first 2 shown]
	ds_write2st64_b32 v107, v45, v86 offset1:15
	ds_write2st64_b32 v104, v75, v48 offset1:15
	;; [unrolled: 1-line block ×4, first 2 shown]
	ds_write2st64_b32 v66, v78, v82 offset0:31 offset1:33
	v_sub_f32_e32 v45, v95, v89
	v_sub_f32_e32 v48, v96, v73
	v_sub_f32_e32 v52, v97, v80
	v_sub_f32_e32 v54, v98, v74
	v_sub_f32_e32 v73, v110, v83
	v_fma_f32 v74, v95, 2.0, -v45
	v_fma_f32 v75, v96, 2.0, -v48
	;; [unrolled: 1-line block ×5, first 2 shown]
	ds_write2st64_b32 v66, v81, v45 offset0:48 offset1:50
	ds_write2st64_b32 v66, v74, v75 offset0:35 offset1:37
	;; [unrolled: 1-line block ×6, first 2 shown]
	s_waitcnt lgkmcnt(0)
	s_barrier
	buffer_gl0_inv
	s_and_saveexec_b32 s0, vcc_lo
	s_cbranch_execz .LBB0_15
; %bb.14:
	v_mov_b32_e32 v56, v3
	v_mov_b32_e32 v54, v3
	v_mov_b32_e32 v52, v3
	v_or_b32_e32 v83, 0x800, v100
	v_or_b32_e32 v85, 0x4400, v100
	v_lshlrev_b64 v[55:56], 3, v[55:56]
	v_lshlrev_b64 v[53:54], 3, v[53:54]
	;; [unrolled: 1-line block ×3, first 2 shown]
	v_or_b32_e32 v87, 0xc00, v100
	v_or_b32_e32 v89, 0x4800, v100
	v_mul_i32_i24_e32 v40, 0xffffffdc, v40
	v_add_co_u32 v45, vcc_lo, s8, v55
	v_add_co_ci_u32_e32 v48, vcc_lo, s9, v56, vcc_lo
	v_add_co_u32 v55, vcc_lo, s8, v53
	v_add_co_ci_u32_e32 v56, vcc_lo, s9, v54, vcc_lo
	;; [unrolled: 2-line block ×9, first 2 shown]
	s_clause 0x1
	global_load_dwordx2 v[51:52], v[62:63], off offset:944
	global_load_dwordx2 v[57:58], v[57:58], off offset:944
	v_add_co_u32 v62, vcc_lo, 0x3800, v67
	v_mov_b32_e32 v48, v3
	v_add_co_ci_u32_e32 v63, vcc_lo, 0, v68, vcc_lo
	v_add_co_u32 v66, vcc_lo, 0x3800, v39
	v_add_co_ci_u32_e32 v67, vcc_lo, 0, v41, vcc_lo
	v_add_co_u32 v6, vcc_lo, 0x3800, v6
	v_lshlrev_b64 v[47:48], 3, v[47:48]
	v_add_co_ci_u32_e32 v7, vcc_lo, 0, v7, vcc_lo
	v_add_co_u32 v73, vcc_lo, 0x3800, v45
	v_mov_b32_e32 v45, v3
	v_add_co_ci_u32_e32 v74, vcc_lo, 0, v74, vcc_lo
	v_add_co_u32 v39, vcc_lo, s8, v47
	v_add_co_ci_u32_e32 v41, vcc_lo, s9, v48, vcc_lo
	v_lshlrev_b64 v[44:45], 3, v[44:45]
	v_add_co_u32 v75, vcc_lo, 0x3800, v39
	v_add_co_ci_u32_e32 v76, vcc_lo, 0, v41, vcc_lo
	v_mov_b32_e32 v47, v3
	v_add_co_u32 v39, vcc_lo, s8, v44
	v_add_co_ci_u32_e32 v41, vcc_lo, s9, v45, vcc_lo
	v_lshlrev_b64 v[46:47], 3, v[46:47]
	v_add_co_u32 v44, vcc_lo, 0x3800, v39
	v_add_co_ci_u32_e32 v45, vcc_lo, 0, v41, vcc_lo
	s_clause 0x9
	global_load_dwordx2 v[32:33], v[32:33], off offset:944
	global_load_dwordx2 v[22:23], v[22:23], off offset:944
	;; [unrolled: 1-line block ×10, first 2 shown]
	v_mov_b32_e32 v44, v3
	v_add_co_u32 v39, vcc_lo, s8, v46
	v_add_co_ci_u32_e32 v41, vcc_lo, s9, v47, vcc_lo
	v_lshlrev_b64 v[44:45], 3, v[43:44]
	v_mov_b32_e32 v43, v3
	v_add_co_u32 v46, vcc_lo, 0x3800, v39
	v_add_co_ci_u32_e32 v47, vcc_lo, 0, v41, vcc_lo
	v_lshlrev_b64 v[41:42], 3, v[42:43]
	v_add_co_u32 v3, vcc_lo, s8, v44
	v_add_co_ci_u32_e32 v39, vcc_lo, s9, v45, vcc_lo
	v_or_b32_e32 v91, 0x1000, v100
	v_add_co_u32 v43, vcc_lo, s8, v41
	v_add_co_ci_u32_e32 v44, vcc_lo, s9, v42, vcc_lo
	v_add_co_u32 v41, vcc_lo, 0x3800, v3
	v_add_co_ci_u32_e32 v42, vcc_lo, 0, v39, vcc_lo
	;; [unrolled: 2-line block ×3, first 2 shown]
	s_clause 0x2
	global_load_dwordx2 v[45:46], v[46:47], off offset:944
	global_load_dwordx2 v[41:42], v[41:42], off offset:944
	;; [unrolled: 1-line block ×3, first 2 shown]
	v_mul_i32_i24_e32 v3, 0xffffffdc, v38
	v_add_co_u32 v119, vcc_lo, s2, v49
	v_add_co_ci_u32_e32 v120, vcc_lo, s3, v50, vcc_lo
	v_or_b32_e32 v49, 0x4000, v100
	ds_read2st64_b32 v[38:39], v103 offset0:56 offset1:58
	ds_read2st64_b32 v[47:48], v103 offset0:52 offset1:54
	ds_read_b32 v99, v31
	ds_read_b32 v109, v30
	ds_read_b32 v110, v29
	ds_read_b32 v111, v28
	ds_read2st64_b32 v[28:29], v103 offset0:48 offset1:50
	ds_read2st64_b32 v[30:31], v103 offset0:44 offset1:46
	;; [unrolled: 1-line block ×3, first 2 shown]
	ds_read_b32 v112, v27
	ds_read_b32 v113, v26
	;; [unrolled: 1-line block ×8, first 2 shown]
	ds_read2st64_b32 v[24:25], v103 offset0:36 offset1:38
	ds_read2st64_b32 v[26:27], v103 offset0:32 offset1:34
	ds_read2st64_b32 v[81:82], v103 offset1:30
	v_add_nc_u32_e32 v107, v101, v3
	v_add_co_u32 v3, vcc_lo, v119, v4
	v_add_co_ci_u32_e32 v4, vcc_lo, v120, v5, vcc_lo
	v_add_co_u32 v49, vcc_lo, v119, v49
	v_add_co_ci_u32_e32 v50, vcc_lo, 0, v120, vcc_lo
	;; [unrolled: 2-line block ×5, first 2 shown]
	v_add_co_u32 v89, vcc_lo, v119, v89
	v_or_b32_e32 v93, 0x4c00, v100
	v_add_nc_u32_e32 v40, v102, v40
	v_add_co_ci_u32_e32 v90, vcc_lo, 0, v120, vcc_lo
	v_add_co_u32 v91, vcc_lo, v119, v91
	v_or_b32_e32 v95, 0x1400, v100
	v_add_co_ci_u32_e32 v92, vcc_lo, 0, v120, vcc_lo
	v_add_co_u32 v93, vcc_lo, v119, v93
	v_or_b32_e32 v97, 0x5000, v100
	ds_read_b32 v40, v40
	ds_read_b32 v122, v107
	v_add_co_ci_u32_e32 v94, vcc_lo, 0, v120, vcc_lo
	v_add_co_u32 v95, vcc_lo, v119, v95
	v_or_b32_e32 v103, 0x1800, v100
	v_add_co_ci_u32_e32 v96, vcc_lo, 0, v120, vcc_lo
	v_add_co_u32 v97, vcc_lo, v119, v97
	v_or_b32_e32 v104, 0x5400, v100
	;; [unrolled: 3-line block ×3, first 2 shown]
	v_add_co_ci_u32_e32 v102, vcc_lo, 0, v120, vcc_lo
	v_add_co_u32 v103, vcc_lo, v119, v104
	v_add_co_ci_u32_e32 v104, vcc_lo, 0, v120, vcc_lo
	v_add_co_u32 v105, vcc_lo, v119, v105
	;; [unrolled: 2-line block ×3, first 2 shown]
	v_add_co_ci_u32_e32 v108, vcc_lo, 0, v4, vcc_lo
	v_or_b32_e32 v121, 0x2000, v100
	s_waitcnt vmcnt(14) lgkmcnt(13)
	v_mul_f32_e32 v5, v51, v80
	v_mul_f32_e32 v80, v52, v80
	s_waitcnt vmcnt(13)
	v_mul_f32_e32 v123, v57, v79
	v_mul_f32_e32 v79, v58, v79
	v_fmac_f32_e32 v5, v21, v52
	v_fma_f32 v21, v21, v51, -v80
	v_fmac_f32_e32 v123, v20, v58
	v_fma_f32 v20, v20, v57, -v79
	s_waitcnt vmcnt(11) lgkmcnt(4)
	v_mul_f32_e32 v125, v22, v24
	v_mul_f32_e32 v24, v23, v24
	;; [unrolled: 1-line block ×4, first 2 shown]
	s_waitcnt vmcnt(10) lgkmcnt(3)
	v_mul_f32_e32 v126, v62, v27
	v_mul_f32_e32 v27, v63, v27
	s_waitcnt vmcnt(9)
	v_mul_f32_e32 v127, v66, v26
	v_mul_f32_e32 v26, v67, v26
	s_waitcnt vmcnt(8) lgkmcnt(2)
	v_mul_f32_e32 v128, v6, v82
	v_mul_f32_e32 v82, v7, v82
	v_fmac_f32_e32 v124, v19, v33
	v_fma_f32 v19, v19, v32, -v25
	v_fmac_f32_e32 v125, v18, v23
	v_fma_f32 v22, v18, v22, -v24
	;; [unrolled: 2-line block ×3, first 2 shown]
	v_fma_f32 v25, v16, v66, -v26
	v_fmac_f32_e32 v128, v15, v7
	v_fma_f32 v7, v15, v6, -v82
	v_fmac_f32_e32 v127, v16, v67
	v_sub_f32_e32 v6, v68, v5
	v_sub_f32_e32 v5, v69, v21
	;; [unrolled: 1-line block ×4, first 2 shown]
	s_waitcnt lgkmcnt(1)
	v_sub_f32_e32 v22, v40, v126
	v_sub_f32_e32 v21, v72, v23
	;; [unrolled: 1-line block ×5, first 2 shown]
	s_waitcnt lgkmcnt(0)
	v_sub_f32_e32 v24, v122, v127
	v_sub_f32_e32 v15, v64, v20
	v_sub_f32_e32 v16, v118, v123
	v_sub_f32_e32 v18, v115, v124
	v_sub_f32_e32 v20, v116, v125
	v_fma_f32 v33, v68, 2.0, -v6
	v_fma_f32 v32, v69, 2.0, -v5
	;; [unrolled: 1-line block ×6, first 2 shown]
	global_store_dwordx2 v[107:108], v[25:26], off offset:1024
	s_waitcnt vmcnt(7)
	v_mul_f32_e32 v7, v53, v39
	v_mul_f32_e32 v14, v54, v39
	s_waitcnt vmcnt(6)
	v_mul_f32_e32 v25, v55, v38
	v_mul_f32_e32 v26, v56, v38
	;; [unrolled: 3-line block ×3, first 2 shown]
	s_waitcnt vmcnt(4)
	v_mul_f32_e32 v40, v76, v47
	s_waitcnt vmcnt(2)
	v_mul_f32_e32 v48, v45, v28
	v_mul_f32_e32 v28, v46, v28
	v_fma_f32 v67, v122, 2.0, -v24
	v_fma_f32 v66, v71, 2.0, -v23
	v_mul_f32_e32 v39, v75, v47
	v_mul_f32_e32 v47, v77, v29
	;; [unrolled: 1-line block ×3, first 2 shown]
	v_fma_f32 v51, v64, 2.0, -v15
	v_fma_f32 v64, v72, 2.0, -v21
	;; [unrolled: 1-line block ×6, first 2 shown]
	s_waitcnt vmcnt(1)
	v_mul_f32_e32 v70, v41, v31
	v_mul_f32_e32 v31, v42, v31
	s_waitcnt vmcnt(0)
	v_mul_f32_e32 v71, v43, v30
	v_mul_f32_e32 v30, v44, v30
	global_store_dwordx2 v[3:4], v[68:69], off
	global_store_dwordx2 v[3:4], v[66:67], off offset:1024
	global_store_dwordx2 v[49:50], v[23:24], off
	global_store_dwordx2 v[83:84], v[64:65], off
	;; [unrolled: 1-line block ×10, first 2 shown]
	v_fmac_f32_e32 v7, v13, v54
	v_fma_f32 v3, v13, v53, -v14
	v_fma_f32 v13, v10, v75, -v40
	;; [unrolled: 1-line block ×3, first 2 shown]
	v_fmac_f32_e32 v27, v11, v74
	v_fma_f32 v11, v11, v73, -v38
	v_fma_f32 v14, v9, v77, -v29
	v_fmac_f32_e32 v47, v9, v78
	v_fmac_f32_e32 v70, v1, v42
	v_fma_f32 v17, v1, v41, -v31
	v_fmac_f32_e32 v71, v0, v44
	v_fma_f32 v19, v0, v43, -v30
	v_sub_f32_e32 v9, v37, v13
	v_sub_f32_e32 v13, v35, v15
	;; [unrolled: 1-line block ×5, first 2 shown]
	v_fmac_f32_e32 v25, v12, v56
	v_sub_f32_e32 v16, v113, v70
	v_sub_f32_e32 v15, v34, v17
	;; [unrolled: 1-line block ×4, first 2 shown]
	v_fma_f32 v29, v35, 2.0, -v13
	v_add_co_u32 v35, vcc_lo, 0x3800, v105
	v_fmac_f32_e32 v48, v8, v46
	v_sub_f32_e32 v8, v110, v27
	v_fma_f32 v27, v36, 2.0, -v11
	v_add_co_ci_u32_e32 v36, vcc_lo, 0, v106, vcc_lo
	v_sub_f32_e32 v4, v109, v25
	v_fma_f32 v25, v37, 2.0, -v9
	v_add_co_u32 v37, vcc_lo, v119, v121
	v_fma_f32 v32, v113, 2.0, -v16
	v_fma_f32 v31, v34, 2.0, -v15
	;; [unrolled: 1-line block ×4, first 2 shown]
	v_add_co_ci_u32_e32 v38, vcc_lo, 0, v120, vcc_lo
	v_or_b32_e32 v2, 0x5c00, v100
	global_store_dwordx2 v[103:104], v[5:6], off
	global_store_dwordx2 v[105:106], v[33:34], off
	global_store_dwordx2 v[35:36], v[17:18], off offset:1024
	global_store_dwordx2 v[37:38], v[31:32], off
	v_or_b32_e32 v17, 0x2400, v100
	v_fma_f32 v12, v12, v55, -v26
	v_add_co_u32 v5, vcc_lo, v119, v2
	v_or_b32_e32 v2, 0x6000, v100
	v_add_co_ci_u32_e32 v6, vcc_lo, 0, v120, vcc_lo
	v_add_co_u32 v17, vcc_lo, v119, v17
	v_or_b32_e32 v33, 0x2800, v100
	v_add_co_ci_u32_e32 v18, vcc_lo, 0, v120, vcc_lo
	v_sub_f32_e32 v0, v61, v3
	v_sub_f32_e32 v3, v60, v12
	;; [unrolled: 1-line block ×4, first 2 shown]
	v_add_co_u32 v31, vcc_lo, v119, v2
	v_add_co_ci_u32_e32 v32, vcc_lo, 0, v120, vcc_lo
	v_add_co_u32 v33, vcc_lo, v119, v33
	v_fma_f32 v28, v117, 2.0, -v12
	v_fma_f32 v30, v112, 2.0, -v14
	v_add_co_ci_u32_e32 v34, vcc_lo, 0, v120, vcc_lo
	v_or_b32_e32 v2, 0x6400, v100
	global_store_dwordx2 v[5:6], v[15:16], off
	global_store_dwordx2 v[17:18], v[29:30], off
	global_store_dwordx2 v[31:32], v[13:14], off
	global_store_dwordx2 v[33:34], v[27:28], off
	v_or_b32_e32 v13, 0x2c00, v100
	v_fmac_f32_e32 v39, v10, v76
	v_add_co_u32 v5, vcc_lo, v119, v2
	v_or_b32_e32 v2, 0x6800, v100
	v_add_co_ci_u32_e32 v6, vcc_lo, 0, v120, vcc_lo
	v_add_co_u32 v13, vcc_lo, v119, v13
	v_or_b32_e32 v17, 0x3000, v100
	v_add_co_ci_u32_e32 v14, vcc_lo, 0, v120, vcc_lo
	v_sub_f32_e32 v10, v111, v39
	v_add_co_u32 v15, vcc_lo, v119, v2
	v_add_co_ci_u32_e32 v16, vcc_lo, 0, v120, vcc_lo
	v_add_co_u32 v17, vcc_lo, v119, v17
	v_fma_f32 v24, v110, 2.0, -v8
	v_fma_f32 v23, v59, 2.0, -v7
	;; [unrolled: 1-line block ×3, first 2 shown]
	v_add_co_ci_u32_e32 v18, vcc_lo, 0, v120, vcc_lo
	v_or_b32_e32 v2, 0x6c00, v100
	global_store_dwordx2 v[5:6], v[11:12], off
	global_store_dwordx2 v[13:14], v[25:26], off
	;; [unrolled: 1-line block ×4, first 2 shown]
	v_or_b32_e32 v9, 0x3400, v100
	v_or_b32_e32 v13, 0x3800, v100
	v_add_co_u32 v5, vcc_lo, v119, v2
	v_or_b32_e32 v2, 0x7000, v100
	v_add_co_ci_u32_e32 v6, vcc_lo, 0, v120, vcc_lo
	v_add_co_u32 v9, vcc_lo, v119, v9
	v_add_co_ci_u32_e32 v10, vcc_lo, 0, v120, vcc_lo
	v_add_co_u32 v11, vcc_lo, v119, v2
	v_or_b32_e32 v2, 0x7400, v100
	v_add_co_ci_u32_e32 v12, vcc_lo, 0, v120, vcc_lo
	v_add_co_u32 v13, vcc_lo, v119, v13
	v_fma_f32 v22, v109, 2.0, -v4
	v_fma_f32 v21, v60, 2.0, -v3
	v_add_co_ci_u32_e32 v14, vcc_lo, 0, v120, vcc_lo
	v_add_co_u32 v15, vcc_lo, v119, v2
	v_fma_f32 v20, v99, 2.0, -v1
	v_fma_f32 v19, v61, 2.0, -v0
	v_add_co_ci_u32_e32 v16, vcc_lo, 0, v120, vcc_lo
	global_store_dwordx2 v[5:6], v[7:8], off
	global_store_dwordx2 v[9:10], v[21:22], off
	global_store_dwordx2 v[11:12], v[3:4], off
	global_store_dwordx2 v[13:14], v[19:20], off
	global_store_dwordx2 v[15:16], v[0:1], off
.LBB0_15:
	s_endpgm
	.section	.rodata,"a",@progbits
	.p2align	6, 0x0
	.amdhsa_kernel fft_rtc_fwd_len3840_factors_10_6_2_2_2_2_2_2_wgs_128_tpt_128_halfLds_sp_ip_CI_unitstride_sbrr_dirReg
		.amdhsa_group_segment_fixed_size 0
		.amdhsa_private_segment_fixed_size 0
		.amdhsa_kernarg_size 88
		.amdhsa_user_sgpr_count 6
		.amdhsa_user_sgpr_private_segment_buffer 1
		.amdhsa_user_sgpr_dispatch_ptr 0
		.amdhsa_user_sgpr_queue_ptr 0
		.amdhsa_user_sgpr_kernarg_segment_ptr 1
		.amdhsa_user_sgpr_dispatch_id 0
		.amdhsa_user_sgpr_flat_scratch_init 0
		.amdhsa_user_sgpr_private_segment_size 0
		.amdhsa_wavefront_size32 1
		.amdhsa_uses_dynamic_stack 0
		.amdhsa_system_sgpr_private_segment_wavefront_offset 0
		.amdhsa_system_sgpr_workgroup_id_x 1
		.amdhsa_system_sgpr_workgroup_id_y 0
		.amdhsa_system_sgpr_workgroup_id_z 0
		.amdhsa_system_sgpr_workgroup_info 0
		.amdhsa_system_vgpr_workitem_id 0
		.amdhsa_next_free_vgpr 154
		.amdhsa_next_free_sgpr 21
		.amdhsa_reserve_vcc 1
		.amdhsa_reserve_flat_scratch 0
		.amdhsa_float_round_mode_32 0
		.amdhsa_float_round_mode_16_64 0
		.amdhsa_float_denorm_mode_32 3
		.amdhsa_float_denorm_mode_16_64 3
		.amdhsa_dx10_clamp 1
		.amdhsa_ieee_mode 1
		.amdhsa_fp16_overflow 0
		.amdhsa_workgroup_processor_mode 1
		.amdhsa_memory_ordered 1
		.amdhsa_forward_progress 0
		.amdhsa_shared_vgpr_count 0
		.amdhsa_exception_fp_ieee_invalid_op 0
		.amdhsa_exception_fp_denorm_src 0
		.amdhsa_exception_fp_ieee_div_zero 0
		.amdhsa_exception_fp_ieee_overflow 0
		.amdhsa_exception_fp_ieee_underflow 0
		.amdhsa_exception_fp_ieee_inexact 0
		.amdhsa_exception_int_div_zero 0
	.end_amdhsa_kernel
	.text
.Lfunc_end0:
	.size	fft_rtc_fwd_len3840_factors_10_6_2_2_2_2_2_2_wgs_128_tpt_128_halfLds_sp_ip_CI_unitstride_sbrr_dirReg, .Lfunc_end0-fft_rtc_fwd_len3840_factors_10_6_2_2_2_2_2_2_wgs_128_tpt_128_halfLds_sp_ip_CI_unitstride_sbrr_dirReg
                                        ; -- End function
	.section	.AMDGPU.csdata,"",@progbits
; Kernel info:
; codeLenInByte = 22584
; NumSgprs: 23
; NumVgprs: 154
; ScratchSize: 0
; MemoryBound: 0
; FloatMode: 240
; IeeeMode: 1
; LDSByteSize: 0 bytes/workgroup (compile time only)
; SGPRBlocks: 2
; VGPRBlocks: 19
; NumSGPRsForWavesPerEU: 23
; NumVGPRsForWavesPerEU: 154
; Occupancy: 6
; WaveLimiterHint : 1
; COMPUTE_PGM_RSRC2:SCRATCH_EN: 0
; COMPUTE_PGM_RSRC2:USER_SGPR: 6
; COMPUTE_PGM_RSRC2:TRAP_HANDLER: 0
; COMPUTE_PGM_RSRC2:TGID_X_EN: 1
; COMPUTE_PGM_RSRC2:TGID_Y_EN: 0
; COMPUTE_PGM_RSRC2:TGID_Z_EN: 0
; COMPUTE_PGM_RSRC2:TIDIG_COMP_CNT: 0
	.text
	.p2alignl 6, 3214868480
	.fill 48, 4, 3214868480
	.type	__hip_cuid_fe788baa95caefee,@object ; @__hip_cuid_fe788baa95caefee
	.section	.bss,"aw",@nobits
	.globl	__hip_cuid_fe788baa95caefee
__hip_cuid_fe788baa95caefee:
	.byte	0                               ; 0x0
	.size	__hip_cuid_fe788baa95caefee, 1

	.ident	"AMD clang version 19.0.0git (https://github.com/RadeonOpenCompute/llvm-project roc-6.4.0 25133 c7fe45cf4b819c5991fe208aaa96edf142730f1d)"
	.section	".note.GNU-stack","",@progbits
	.addrsig
	.addrsig_sym __hip_cuid_fe788baa95caefee
	.amdgpu_metadata
---
amdhsa.kernels:
  - .args:
      - .actual_access:  read_only
        .address_space:  global
        .offset:         0
        .size:           8
        .value_kind:     global_buffer
      - .offset:         8
        .size:           8
        .value_kind:     by_value
      - .actual_access:  read_only
        .address_space:  global
        .offset:         16
        .size:           8
        .value_kind:     global_buffer
      - .actual_access:  read_only
        .address_space:  global
        .offset:         24
        .size:           8
        .value_kind:     global_buffer
      - .offset:         32
        .size:           8
        .value_kind:     by_value
      - .actual_access:  read_only
        .address_space:  global
        .offset:         40
        .size:           8
        .value_kind:     global_buffer
      - .actual_access:  read_only
        .address_space:  global
        .offset:         48
        .size:           8
        .value_kind:     global_buffer
      - .offset:         56
        .size:           4
        .value_kind:     by_value
      - .actual_access:  read_only
        .address_space:  global
        .offset:         64
        .size:           8
        .value_kind:     global_buffer
      - .actual_access:  read_only
        .address_space:  global
        .offset:         72
        .size:           8
        .value_kind:     global_buffer
      - .address_space:  global
        .offset:         80
        .size:           8
        .value_kind:     global_buffer
    .group_segment_fixed_size: 0
    .kernarg_segment_align: 8
    .kernarg_segment_size: 88
    .language:       OpenCL C
    .language_version:
      - 2
      - 0
    .max_flat_workgroup_size: 128
    .name:           fft_rtc_fwd_len3840_factors_10_6_2_2_2_2_2_2_wgs_128_tpt_128_halfLds_sp_ip_CI_unitstride_sbrr_dirReg
    .private_segment_fixed_size: 0
    .sgpr_count:     23
    .sgpr_spill_count: 0
    .symbol:         fft_rtc_fwd_len3840_factors_10_6_2_2_2_2_2_2_wgs_128_tpt_128_halfLds_sp_ip_CI_unitstride_sbrr_dirReg.kd
    .uniform_work_group_size: 1
    .uses_dynamic_stack: false
    .vgpr_count:     154
    .vgpr_spill_count: 0
    .wavefront_size: 32
    .workgroup_processor_mode: 1
amdhsa.target:   amdgcn-amd-amdhsa--gfx1030
amdhsa.version:
  - 1
  - 2
...

	.end_amdgpu_metadata
